;; amdgpu-corpus repo=ROCm/rocFFT kind=compiled arch=gfx950 opt=O3
	.text
	.amdgcn_target "amdgcn-amd-amdhsa--gfx950"
	.amdhsa_code_object_version 6
	.protected	bluestein_single_fwd_len600_dim1_sp_op_CI_CI ; -- Begin function bluestein_single_fwd_len600_dim1_sp_op_CI_CI
	.globl	bluestein_single_fwd_len600_dim1_sp_op_CI_CI
	.p2align	8
	.type	bluestein_single_fwd_len600_dim1_sp_op_CI_CI,@function
bluestein_single_fwd_len600_dim1_sp_op_CI_CI: ; @bluestein_single_fwd_len600_dim1_sp_op_CI_CI
; %bb.0:
	s_load_dwordx4 s[12:15], s[0:1], 0x28
	v_mul_u32_u24_e32 v1, 0x445, v0
	v_add_u32_sdwa v64, s2, v1 dst_sel:DWORD dst_unused:UNUSED_PAD src0_sel:DWORD src1_sel:WORD_1
	v_mov_b32_e32 v65, 0
	s_waitcnt lgkmcnt(0)
	v_cmp_gt_u64_e32 vcc, s[12:13], v[64:65]
	s_and_saveexec_b64 s[2:3], vcc
	s_cbranch_execz .LBB0_10
; %bb.1:
	s_load_dwordx4 s[4:7], s[0:1], 0x18
	s_load_dwordx4 s[8:11], s[0:1], 0x0
	v_mov_b32_e32 v2, s14
	v_mov_b32_e32 v3, s15
	;; [unrolled: 1-line block ×3, first 2 shown]
	s_waitcnt lgkmcnt(0)
	s_load_dwordx4 s[12:15], s[4:5], 0x0
	v_mul_lo_u16_sdwa v1, v1, v4 dst_sel:DWORD dst_unused:UNUSED_PAD src0_sel:WORD_1 src1_sel:DWORD
	v_sub_u16_e32 v114, v0, v1
	v_mov_b32_e32 v22, 0x1e0
	v_lshlrev_b32_e32 v62, 3, v114
	s_waitcnt lgkmcnt(0)
	v_mad_u64_u32 v[0:1], s[2:3], s14, v64, 0
	v_mov_b32_e32 v4, v1
	v_mad_u64_u32 v[4:5], s[2:3], s15, v64, v[4:5]
	v_mov_b32_e32 v1, v4
	v_mad_u64_u32 v[4:5], s[2:3], s12, v114, 0
	v_mov_b32_e32 v6, v5
	v_mad_u64_u32 v[6:7], s[2:3], s13, v114, v[6:7]
	v_mov_b32_e32 v5, v6
	v_lshl_add_u64 v[0:1], v[0:1], 3, v[2:3]
	v_lshl_add_u64 v[0:1], v[4:5], 3, v[0:1]
	global_load_dwordx2 v[2:3], v[0:1], off
	v_mad_u64_u32 v[0:1], s[2:3], s12, v22, v[0:1]
	s_mul_i32 s4, s13, 0x1e0
	v_add_u32_e32 v1, s4, v1
	v_mad_u64_u32 v[6:7], s[2:3], s12, v22, v[0:1]
	v_add_u32_e32 v7, s4, v7
	v_mad_u64_u32 v[8:9], s[2:3], s12, v22, v[6:7]
	v_add_u32_e32 v9, s4, v9
	global_load_dwordx2 v[78:79], v62, s[8:9]
	global_load_dwordx2 v[76:77], v62, s[8:9] offset:480
	global_load_dwordx2 v[70:71], v62, s[8:9] offset:960
	;; [unrolled: 1-line block ×3, first 2 shown]
	global_load_dwordx2 v[10:11], v[0:1], off
	v_mad_u64_u32 v[0:1], s[2:3], s12, v22, v[8:9]
	v_add_u32_e32 v1, s4, v1
	global_load_dwordx2 v[12:13], v[6:7], off
	global_load_dwordx2 v[14:15], v[8:9], off
	;; [unrolled: 1-line block ×3, first 2 shown]
	v_mad_u64_u32 v[0:1], s[2:3], s12, v22, v[0:1]
	v_add_u32_e32 v1, s4, v1
	global_load_dwordx2 v[6:7], v[0:1], off
	v_mad_u64_u32 v[0:1], s[2:3], s12, v22, v[0:1]
	v_add_u32_e32 v1, s4, v1
	global_load_dwordx2 v[74:75], v62, s[8:9] offset:1920
	global_load_dwordx2 v[8:9], v[0:1], off
	v_mad_u64_u32 v[0:1], s[2:3], s12, v22, v[0:1]
	v_add_u32_e32 v1, s4, v1
	global_load_dwordx2 v[72:73], v62, s[8:9] offset:2400
	global_load_dwordx2 v[18:19], v[0:1], off
	global_load_dwordx2 v[66:67], v62, s[8:9] offset:2880
	global_load_dwordx2 v[60:61], v62, s[8:9] offset:3360
	v_mad_u64_u32 v[0:1], s[2:3], s12, v22, v[0:1]
	v_add_u32_e32 v1, s4, v1
	v_mov_b32_e32 v63, v65
	global_load_dwordx2 v[20:21], v[0:1], off
	global_load_dwordx2 v[56:57], v62, s[8:9] offset:3840
	v_mad_u64_u32 v[0:1], s[2:3], s12, v22, v[0:1]
	v_lshl_add_u64 v[4:5], s[8:9], 0, v[62:63]
	s_movk_i32 s2, 0x1000
	v_add_co_u32_e32 v4, vcc, s2, v4
	v_add_u32_e32 v1, s4, v1
	s_nop 0
	v_addc_co_u32_e32 v5, vcc, 0, v5, vcc
	global_load_dwordx2 v[58:59], v[4:5], off offset:224
	global_load_dwordx2 v[22:23], v[0:1], off
	v_add_u32_e32 v50, 0x400, v62
	s_load_dwordx4 s[4:7], s[6:7], 0x0
	s_mov_b32 s12, 0x3f737871
	s_mov_b32 s2, 0x3f167918
	;; [unrolled: 1-line block ×5, first 2 shown]
	v_cmp_gt_u16_e32 vcc, 40, v114
	s_waitcnt vmcnt(18)
	v_mul_f32_e32 v0, v3, v79
	v_mul_f32_e32 v1, v2, v79
	v_fmac_f32_e32 v0, v2, v78
	v_fma_f32 v1, v3, v78, -v1
	s_waitcnt vmcnt(14)
	v_mul_f32_e32 v2, v11, v77
	v_mul_f32_e32 v3, v10, v77
	v_fmac_f32_e32 v2, v10, v76
	v_fma_f32 v3, v11, v76, -v3
	ds_write2_b64 v62, v[0:1], v[2:3] offset1:60
	s_waitcnt vmcnt(13)
	v_mul_f32_e32 v0, v13, v71
	v_mul_f32_e32 v1, v12, v71
	s_waitcnt vmcnt(12)
	v_mul_f32_e32 v2, v15, v69
	v_mul_f32_e32 v3, v14, v69
	v_fmac_f32_e32 v0, v12, v70
	v_fma_f32 v1, v13, v70, -v1
	v_fmac_f32_e32 v2, v14, v68
	v_fma_f32 v3, v15, v68, -v3
	ds_write2_b64 v62, v[0:1], v[2:3] offset0:120 offset1:180
	s_waitcnt vmcnt(9)
	v_mul_f32_e32 v0, v17, v75
	v_mul_f32_e32 v1, v16, v75
	s_waitcnt vmcnt(7)
	v_mul_f32_e32 v2, v7, v73
	v_mul_f32_e32 v3, v6, v73
	v_fmac_f32_e32 v0, v16, v74
	v_fma_f32 v1, v17, v74, -v1
	v_fmac_f32_e32 v2, v6, v72
	v_fma_f32 v3, v7, v72, -v3
	ds_write2_b64 v50, v[0:1], v[2:3] offset0:112 offset1:172
	s_waitcnt vmcnt(5)
	v_mul_f32_e32 v0, v8, v67
	v_mul_f32_e32 v2, v9, v67
	v_fma_f32 v3, v9, v66, -v0
	s_waitcnt vmcnt(4)
	v_mul_f32_e32 v4, v19, v61
	v_mul_f32_e32 v0, v18, v61
	v_fmac_f32_e32 v2, v8, v66
	v_fmac_f32_e32 v4, v18, v60
	v_fma_f32 v5, v19, v60, -v0
	v_add_u32_e32 v0, 0x800, v62
	s_waitcnt vmcnt(2)
	v_mul_f32_e32 v1, v20, v57
	ds_write2_b64 v0, v[2:3], v[4:5] offset0:104 offset1:164
	v_mul_f32_e32 v2, v21, v57
	v_fma_f32 v3, v21, v56, -v1
	s_waitcnt vmcnt(0)
	v_mul_f32_e32 v4, v23, v59
	v_mul_f32_e32 v1, v22, v59
	v_fmac_f32_e32 v2, v20, v56
	v_fmac_f32_e32 v4, v22, v58
	v_fma_f32 v5, v23, v58, -v1
	v_add_u32_e32 v1, 0xc00, v62
	ds_write2_b64 v1, v[2:3], v[4:5] offset0:96 offset1:156
	s_waitcnt lgkmcnt(0)
	; wave barrier
	s_waitcnt lgkmcnt(0)
	ds_read2_b64 v[2:5], v62 offset1:60
	ds_read2_b64 v[6:9], v50 offset0:112 offset1:172
	ds_read2_b64 v[10:13], v0 offset0:104 offset1:164
	ds_read2_b64 v[14:17], v62 offset0:120 offset1:180
	ds_read2_b64 v[20:23], v1 offset0:96 offset1:156
	s_waitcnt lgkmcnt(0)
	; wave barrier
	s_waitcnt lgkmcnt(0)
	v_pk_add_f32 v[18:19], v[6:7], v[10:11]
	v_pk_add_f32 v[28:29], v[6:7], v[10:11] neg_lo:[0,1] neg_hi:[0,1]
	v_pk_add_f32 v[24:25], v[14:15], v[20:21] neg_lo:[0,1] neg_hi:[0,1]
	v_pk_fma_f32 v[18:19], v[18:19], 0.5, v[2:3] op_sel_hi:[1,0,1] neg_lo:[1,0,0] neg_hi:[1,0,0]
	v_pk_mul_f32 v[26:27], v[24:25], s[12:13] op_sel_hi:[1,0]
	v_pk_add_f32 v[30:31], v[14:15], v[6:7] neg_lo:[0,1] neg_hi:[0,1]
	v_pk_add_f32 v[32:33], v[20:21], v[10:11] neg_lo:[0,1] neg_hi:[0,1]
	v_pk_add_f32 v[34:35], v[12:13], v[22:23] neg_lo:[0,1] neg_hi:[0,1]
	v_pk_add_f32 v[30:31], v[30:31], v[32:33]
	v_pk_add_f32 v[32:33], v[18:19], v[26:27] op_sel:[0,1] op_sel_hi:[1,0]
	v_pk_add_f32 v[18:19], v[18:19], v[26:27] op_sel:[0,1] op_sel_hi:[1,0] neg_lo:[0,1] neg_hi:[0,1]
	v_pk_mul_f32 v[26:27], v[28:29], s[2:3] op_sel_hi:[1,0]
	v_pk_add_f32 v[36:37], v[8:9], v[12:13] neg_lo:[0,1] neg_hi:[0,1]
	v_pk_add_f32 v[18:19], v[18:19], v[26:27] op_sel:[0,1] op_sel_hi:[1,0] neg_lo:[0,1] neg_hi:[0,1]
	v_pk_add_f32 v[26:27], v[32:33], v[26:27] op_sel:[0,1] op_sel_hi:[1,0]
	v_pk_add_f32 v[32:33], v[8:9], v[16:17] neg_lo:[0,1] neg_hi:[0,1]
	v_pk_mul_f32 v[38:39], v[36:37], s[12:13] op_sel_hi:[1,0]
	v_pk_add_f32 v[32:33], v[32:33], v[34:35]
	v_pk_add_f32 v[34:35], v[16:17], v[22:23]
	v_pk_mul_f32 v[28:29], v[28:29], s[12:13] op_sel_hi:[1,0]
	v_pk_fma_f32 v[34:35], v[34:35], 0.5, v[4:5] op_sel_hi:[1,0,1] neg_lo:[1,0,0] neg_hi:[1,0,0]
	v_pk_mul_f32 v[24:25], v[24:25], s[2:3] op_sel_hi:[1,0]
	v_pk_add_f32 v[40:41], v[34:35], v[38:39] op_sel:[0,1] op_sel_hi:[1,0] neg_lo:[0,1] neg_hi:[0,1]
	v_pk_add_f32 v[34:35], v[34:35], v[38:39] op_sel:[0,1] op_sel_hi:[1,0]
	v_pk_add_f32 v[38:39], v[16:17], v[22:23] neg_lo:[0,1] neg_hi:[0,1]
	s_nop 0
	v_pk_mul_f32 v[42:43], v[38:39], s[2:3] op_sel_hi:[1,0]
	s_nop 0
	v_pk_add_f32 v[34:35], v[34:35], v[42:43] op_sel:[0,1] op_sel_hi:[1,0] neg_lo:[0,1] neg_hi:[0,1]
	v_pk_add_f32 v[40:41], v[40:41], v[42:43] op_sel:[0,1] op_sel_hi:[1,0]
	v_mov_b32_e32 v43, v35
	v_mov_b32_e32 v42, v40
	v_pk_fma_f32 v[42:43], v[32:33], s[14:15], v[42:43] op_sel_hi:[1,0,1]
	v_mov_b32_e32 v35, v41
	v_pk_mul_f32 v[44:45], v[42:43], s[12:13] op_sel_hi:[1,0]
	v_pk_fma_f32 v[32:33], v[32:33], s[14:15], v[34:35] op_sel_hi:[1,0,1]
	v_pk_fma_f32 v[48:49], v[42:43], s[14:15], v[44:45] op_sel:[0,0,1] op_sel_hi:[1,0,0]
	v_pk_fma_f32 v[42:43], v[42:43], s[14:15], v[44:45] op_sel:[0,0,1] op_sel_hi:[1,0,0] neg_lo:[0,0,1] neg_hi:[0,0,1]
	v_pk_add_f32 v[44:45], v[10:11], v[20:21] neg_lo:[0,1] neg_hi:[0,1]
	v_mov_b32_e32 v49, v43
	v_pk_add_f32 v[42:43], v[6:7], v[14:15] neg_lo:[0,1] neg_hi:[0,1]
	v_pk_mul_f32 v[34:35], v[32:33], s[14:15] op_sel_hi:[1,0]
	v_pk_add_f32 v[42:43], v[42:43], v[44:45]
	v_pk_add_f32 v[44:45], v[14:15], v[20:21]
	v_pk_fma_f32 v[32:33], v[32:33], s[16:17], v[34:35] op_sel:[0,0,1] op_sel_hi:[1,1,0] neg_lo:[0,0,1] neg_hi:[0,0,1]
	v_pk_fma_f32 v[44:45], v[44:45], 0.5, v[2:3] op_sel_hi:[1,0,1] neg_lo:[1,0,0] neg_hi:[1,0,0]
	v_pk_add_f32 v[2:3], v[2:3], v[14:15]
	v_pk_add_f32 v[46:47], v[44:45], v[28:29] op_sel:[0,1] op_sel_hi:[1,0] neg_lo:[0,1] neg_hi:[0,1]
	v_pk_add_f32 v[28:29], v[44:45], v[28:29] op_sel:[0,1] op_sel_hi:[1,0]
	v_pk_add_f32 v[14:15], v[16:17], v[8:9] neg_lo:[0,1] neg_hi:[0,1]
	v_pk_add_f32 v[28:29], v[28:29], v[24:25] op_sel:[0,1] op_sel_hi:[1,0] neg_lo:[0,1] neg_hi:[0,1]
	v_pk_add_f32 v[24:25], v[46:47], v[24:25] op_sel:[0,1] op_sel_hi:[1,0]
	v_mov_b32_e32 v35, v29
	v_mov_b32_e32 v34, v24
	;; [unrolled: 1-line block ×6, first 2 shown]
	v_pk_fma_f32 v[26:27], v[30:31], s[14:15], v[24:25] op_sel_hi:[1,0,1]
	v_pk_fma_f32 v[30:31], v[30:31], s[14:15], v[18:19] op_sel_hi:[1,0,1]
	v_pk_add_f32 v[18:19], v[8:9], v[12:13]
	v_pk_fma_f32 v[34:35], v[42:43], s[14:15], v[34:35] op_sel_hi:[1,0,1]
	v_pk_fma_f32 v[18:19], v[18:19], 0.5, v[4:5] op_sel_hi:[1,0,1] neg_lo:[1,0,0] neg_hi:[1,0,0]
	v_pk_add_f32 v[4:5], v[4:5], v[16:17]
	v_pk_add_f32 v[16:17], v[22:23], v[12:13] neg_lo:[0,1] neg_hi:[0,1]
	v_pk_fma_f32 v[28:29], v[42:43], s[14:15], v[28:29] op_sel_hi:[1,0,1]
	v_pk_add_f32 v[14:15], v[14:15], v[16:17]
	v_pk_mul_f32 v[16:17], v[38:39], s[12:13] op_sel_hi:[1,0]
	s_mov_b32 s12, 0xbf167918
	v_pk_add_f32 v[24:25], v[18:19], v[16:17] op_sel:[0,1] op_sel_hi:[1,0]
	v_pk_add_f32 v[16:17], v[18:19], v[16:17] op_sel:[0,1] op_sel_hi:[1,0] neg_lo:[0,1] neg_hi:[0,1]
	v_pk_mul_f32 v[18:19], v[36:37], s[2:3] op_sel_hi:[1,0]
	s_mov_b32 s13, s2
	v_pk_add_f32 v[24:25], v[18:19], v[24:25] op_sel:[1,0] op_sel_hi:[0,1]
	v_pk_add_f32 v[16:17], v[16:17], v[18:19] op_sel:[0,1] op_sel_hi:[1,0] neg_lo:[0,1] neg_hi:[0,1]
	v_pk_add_f32 v[2:3], v[2:3], v[6:7]
	v_pk_fma_f32 v[18:19], v[14:15], s[14:15], v[16:17] op_sel_hi:[1,0,1]
	v_mov_b32_e32 v17, v25
	v_pk_fma_f32 v[24:25], v[14:15], s[14:15], v[24:25] op_sel_hi:[1,0,1]
	v_pk_fma_f32 v[14:15], v[14:15], s[14:15], v[16:17] op_sel_hi:[1,0,1]
	s_mov_b32 s14, 0x3f4f1bbd
	v_pk_mul_f32 v[16:17], v[14:15], s[14:15] op_sel_hi:[1,0]
	s_mov_b32 s15, s2
	v_pk_fma_f32 v[14:15], v[14:15], s[12:13], v[16:17] op_sel:[0,0,1] op_sel_hi:[1,1,0] neg_lo:[0,0,1] neg_hi:[0,0,1]
	v_pk_mul_f32 v[16:17], v[24:25], s[14:15] op_sel_hi:[0,1]
	s_mov_b32 s3, s14
	v_pk_add_f32 v[4:5], v[4:5], v[8:9]
	v_pk_fma_f32 v[36:37], v[18:19], s[2:3], v[16:17] op_sel:[1,0,0]
	v_pk_fma_f32 v[16:17], v[18:19], s[2:3], v[16:17] op_sel:[1,0,0] neg_lo:[0,0,1] neg_hi:[0,0,1]
	v_pk_add_f32 v[2:3], v[2:3], v[10:11]
	v_pk_add_f32 v[4:5], v[4:5], v[12:13]
	v_mov_b32_e32 v37, v17
	v_pk_add_f32 v[6:7], v[2:3], v[20:21]
	v_pk_add_f32 v[8:9], v[4:5], v[22:23]
	v_mul_lo_u16_e32 v2, 10, v114
	v_lshlrev_b32_e32 v46, 3, v2
	v_pk_add_f32 v[4:5], v[26:27], v[36:37]
	v_pk_add_f32 v[2:3], v[6:7], v[8:9]
	v_pk_add_f32 v[40:41], v[30:31], v[14:15] op_sel:[1,0] op_sel_hi:[0,1] neg_lo:[0,1] neg_hi:[0,1]
	ds_write_b128 v46, v[2:5]
	v_pk_add_f32 v[2:3], v[34:35], v[48:49]
	v_pk_add_f32 v[4:5], v[28:29], v[32:33] op_sel:[0,1] op_sel_hi:[1,0]
	v_pk_add_f32 v[10:11], v[30:31], v[14:15] op_sel:[1,0] op_sel_hi:[0,1]
	v_pk_add_f32 v[24:25], v[28:29], v[32:33] op_sel:[0,1] op_sel_hi:[1,0] neg_lo:[0,1] neg_hi:[0,1]
	v_pk_add_f32 v[16:17], v[26:27], v[36:37] neg_lo:[0,1] neg_hi:[0,1]
	ds_write_b128 v46, v[2:5] offset:16
	v_pk_add_f32 v[4:5], v[6:7], v[8:9] neg_lo:[0,1] neg_hi:[0,1]
	v_mov_b32_e32 v2, v11
	v_mov_b32_e32 v3, v10
	;; [unrolled: 1-line block ×4, first 2 shown]
	v_pk_add_f32 v[18:19], v[34:35], v[48:49] neg_lo:[0,1] neg_hi:[0,1]
	ds_write_b128 v46, v[2:5] offset:32
	ds_write_b128 v46, v[16:19] offset:48
	;; [unrolled: 1-line block ×3, first 2 shown]
	s_waitcnt lgkmcnt(0)
	; wave barrier
	s_waitcnt lgkmcnt(0)
	ds_read2_b64 v[20:23], v62 offset1:100
	ds_read2_b64 v[32:35], v50 offset0:72 offset1:172
	ds_read2_b64 v[28:31], v0 offset0:144 offset1:244
	s_load_dwordx2 s[2:3], s[0:1], 0x38
                                        ; implicit-def: $vgpr36
                                        ; implicit-def: $vgpr26
	s_and_saveexec_b64 s[0:1], vcc
	s_cbranch_execz .LBB0_3
; %bb.2:
	ds_read2_b64 v[24:27], v0 offset0:4 offset1:104
	ds_read2_b64 v[36:39], v1 offset0:76 offset1:176
	;; [unrolled: 1-line block ×3, first 2 shown]
	s_waitcnt lgkmcnt(0)
	v_mov_b32_e32 v40, v27
	v_mov_b32_e32 v41, v26
	;; [unrolled: 1-line block ×3, first 2 shown]
.LBB0_3:
	s_or_b64 exec, exec, s[0:1]
	s_movk_i32 s12, 0xcd
	v_mul_lo_u16_sdwa v0, v114, s12 dst_sel:DWORD dst_unused:UNUSED_PAD src0_sel:BYTE_0 src1_sel:DWORD
	v_lshrrev_b16_e32 v27, 11, v0
	v_mul_lo_u16_e32 v0, 10, v27
	v_sub_u16_e32 v0, v114, v0
	v_and_b32_e32 v37, 0xff, v0
	v_add_u16_e32 v0, 60, v114
	v_mul_lo_u16_sdwa v1, v0, s12 dst_sel:DWORD dst_unused:UNUSED_PAD src0_sel:BYTE_0 src1_sel:DWORD
	v_lshrrev_b16_e32 v47, 11, v1
	v_mul_lo_u16_e32 v1, 10, v47
	v_sub_u16_e32 v0, v0, v1
	v_mad_u64_u32 v[42:43], s[0:1], v37, 40, s[10:11]
	v_and_b32_e32 v65, 0xff, v0
	global_load_dwordx4 v[8:11], v[42:43], off offset:16
	global_load_dwordx4 v[12:15], v[42:43], off
	v_mad_u64_u32 v[44:45], s[0:1], v65, 40, s[10:11]
	global_load_dwordx4 v[0:3], v[44:45], off
	global_load_dwordx2 v[80:81], v[44:45], off offset:32
	global_load_dwordx4 v[4:7], v[44:45], off offset:16
	global_load_dwordx2 v[82:83], v[42:43], off offset:32
	v_mul_u32_u24_e32 v27, 60, v27
	v_add_lshl_u32 v115, v27, v37, 3
	v_mov_b32_e32 v44, v41
	s_mov_b32 s0, 0x3f5db3d7
	s_mov_b32 s12, 0.5
	v_mov_b32_e32 v42, v19
	v_mov_b32_e32 v48, v39
	s_waitcnt lgkmcnt(0)
	; wave barrier
	s_waitcnt lgkmcnt(0)
	s_mov_b32 s13, s0
	v_mov_b32_e32 v63, 0
	v_mul_u32_u24_e32 v116, 60, v47
	s_waitcnt vmcnt(5)
	v_pk_mul_f32 v[92:93], v[34:35], v[8:9] op_sel:[0,1]
	s_waitcnt vmcnt(4)
	v_mov_b32_e32 v88, v15
	s_waitcnt vmcnt(2)
	v_pk_mul_f32 v[52:53], v[38:39], v[80:81]
	v_pk_mul_f32 v[54:55], v[24:25], v[2:3] op_sel:[1,0]
	s_waitcnt vmcnt(1)
	v_pk_mul_f32 v[90:91], v[26:27], v[6:7] op_sel_hi:[0,1]
	v_pk_mul_f32 v[96:97], v[40:41], v[4:5]
	v_mov_b32_e32 v84, v11
	v_mov_b32_e32 v94, v5
	v_pk_mul_f32 v[98:99], v[22:23], v[12:13] op_sel:[0,1]
	v_mov_b32_e32 v96, v53
	v_pk_fma_f32 v[26:27], v[24:25], v[2:3], v[54:55] op_sel:[0,0,1] op_sel_hi:[1,1,0] neg_lo:[0,0,1] neg_hi:[0,0,1]
	v_pk_fma_f32 v[54:55], v[24:25], v[2:3], v[54:55] op_sel:[0,0,1] op_sel_hi:[0,1,0]
	v_pk_fma_f32 v[24:25], v[36:37], v[6:7], v[90:91] op_sel:[0,0,1] op_sel_hi:[1,1,0] neg_lo:[0,0,1] neg_hi:[0,0,1]
	v_pk_fma_f32 v[90:91], v[36:37], v[6:7], v[90:91] op_sel:[0,0,1] op_sel_hi:[0,1,0]
	v_pk_mul_f32 v[36:37], v[32:33], v[88:89] op_sel_hi:[1,0]
	v_pk_fma_f32 v[104:105], v[34:35], v[8:9], v[92:93] op_sel:[0,0,1] op_sel_hi:[1,1,0] neg_lo:[0,0,1] neg_hi:[0,0,1]
	v_pk_fma_f32 v[34:35], v[34:35], v[8:9], v[92:93] op_sel:[0,0,1] op_sel_hi:[1,0,0]
	v_pk_mul_f32 v[50:51], v[18:19], v[0:1]
	v_pk_mul_f32 v[92:93], v[40:41], v[94:95]
	v_mov_b32_e32 v34, v97
	v_pk_fma_f32 v[94:95], v[22:23], v[12:13], v[98:99] op_sel:[0,0,1] op_sel_hi:[1,1,0] neg_lo:[0,0,1] neg_hi:[0,0,1]
	v_pk_fma_f32 v[98:99], v[22:23], v[12:13], v[98:99] op_sel:[0,0,1] op_sel_hi:[1,0,0]
	v_pk_mul_f32 v[106:107], v[28:29], v[84:85] op_sel_hi:[1,0]
	v_pk_fma_f32 v[22:23], v[38:39], v[80:81], v[96:97] neg_lo:[0,0,1] neg_hi:[0,0,1]
	v_pk_fma_f32 v[96:97], v[32:33], v[14:15], v[36:37] op_sel:[0,0,1] op_sel_hi:[1,1,0] neg_lo:[0,0,1] neg_hi:[0,0,1]
	v_pk_fma_f32 v[32:33], v[32:33], v[14:15], v[36:37] op_sel:[0,0,1] op_sel_hi:[1,0,0]
	v_mov_b32_e32 v50, v81
	v_pk_fma_f32 v[36:37], v[40:41], v[4:5], v[34:35]
	v_mov_b32_e32 v27, v55
	v_mov_b32_e32 v25, v91
	;; [unrolled: 1-line block ×3, first 2 shown]
	v_pk_fma_f32 v[34:35], v[28:29], v[10:11], v[106:107] op_sel:[0,0,1] op_sel_hi:[1,1,0] neg_lo:[0,0,1] neg_hi:[0,0,1]
	v_pk_fma_f32 v[28:29], v[28:29], v[10:11], v[106:107] op_sel:[0,0,1] op_sel_hi:[1,0,0]
	v_mov_b32_e32 v97, v33
	v_mov_b32_e32 v52, v1
	s_waitcnt vmcnt(0)
	v_pk_mul_f32 v[100:101], v[30:31], v[82:83] op_sel:[0,1]
	v_pk_mul_f32 v[102:103], v[38:39], v[50:51]
	v_mov_b32_e32 v50, v51
	v_pk_add_f32 v[32:33], v[26:27], v[24:25] neg_lo:[0,1] neg_hi:[0,1]
	v_mov_b32_e32 v35, v29
	v_pk_add_f32 v[40:41], v[20:21], v[96:97]
	v_pk_mul_f32 v[52:53], v[18:19], v[52:53]
	v_pk_fma_f32 v[108:109], v[30:31], v[82:83], v[100:101] op_sel:[0,0,1] op_sel_hi:[1,1,0] neg_lo:[0,0,1] neg_hi:[0,0,1]
	v_pk_fma_f32 v[100:101], v[30:31], v[82:83], v[100:101] op_sel:[0,0,1] op_sel_hi:[1,0,0]
	v_pk_fma_f32 v[18:19], v[18:19], v[0:1], v[50:51] neg_lo:[0,0,1] neg_hi:[0,0,1]
	v_pk_mul_f32 v[32:33], v[32:33], s[0:1] op_sel_hi:[1,0]
	s_mov_b32 s1, s12
	v_pk_add_f32 v[50:51], v[40:41], v[34:35]
	v_pk_add_f32 v[40:41], v[96:97], v[34:35]
	v_pk_add_f32 v[34:35], v[96:97], v[34:35] neg_lo:[0,1] neg_hi:[0,1]
	v_pk_mul_f32 v[42:43], v[42:43], v[0:1]
	v_pk_fma_f32 v[30:31], v[44:45], v[4:5], v[92:93] op_sel_hi:[0,1,1] neg_lo:[0,0,1] neg_hi:[0,0,1]
	v_pk_fma_f32 v[38:39], v[48:49], v[80:81], v[102:103] op_sel_hi:[0,1,1]
	v_mov_b32_e32 v109, v101
	v_pk_fma_f32 v[20:21], v[40:41], 0.5, v[20:21] op_sel_hi:[1,0,1] neg_lo:[1,0,0] neg_hi:[1,0,0]
	v_pk_mul_f32 v[34:35], v[34:35], s[0:1] op_sel_hi:[1,0]
	v_mov_b32_e32 v86, v9
	v_mov_b32_e32 v95, v99
	v_add_f32_e32 v9, v30, v22
	v_mov_b32_e32 v43, v36
	v_mov_b32_e32 v53, v38
	v_pk_add_f32 v[54:55], v[34:35], v[20:21] op_sel:[1,0] op_sel_hi:[0,1]
	v_pk_add_f32 v[34:35], v[20:21], v[34:35] op_sel:[0,1] op_sel_hi:[1,0] neg_lo:[0,1] neg_hi:[0,1]
	v_pk_add_f32 v[20:21], v[104:105], v[108:109]
	v_sub_f32_e32 v11, v36, v38
	v_fma_f32 v45, -0.5, v9, v18
	v_pk_add_f32 v[28:29], v[42:43], v[52:53]
	v_pk_fma_f32 v[20:21], v[20:21], 0.5, v[94:95] op_sel_hi:[1,0,1] neg_lo:[1,0,0] neg_hi:[1,0,0]
	v_pk_add_f32 v[42:43], v[104:105], v[108:109] neg_lo:[0,1] neg_hi:[0,1]
	v_sub_f32_e32 v15, v30, v22
	v_fmamk_f32 v44, v11, 0x3f5db3d7, v45
	v_fmac_f32_e32 v45, 0xbf5db3d7, v11
	v_fma_f32 v11, -0.5, v29, v28
	v_pk_fma_f32 v[90:91], v[42:43], s[0:1], v[20:21] op_sel:[0,0,1] op_sel_hi:[1,0,0]
	v_pk_fma_f32 v[92:93], v[42:43], s[0:1], v[20:21] op_sel:[0,0,1] op_sel_hi:[1,0,0] neg_lo:[1,0,0] neg_hi:[1,0,0]
	v_fmamk_f32 v48, v15, 0xbf5db3d7, v11
	v_fmac_f32_e32 v11, 0x3f5db3d7, v15
	v_pk_add_f32 v[40:41], v[94:95], v[104:105]
	v_mul_f32_e32 v15, 0x3f5db3d7, v92
	v_mul_f32_e32 v49, 0xbf5db3d7, v91
	v_pk_add_f32 v[52:53], v[40:41], v[108:109]
	v_fmac_f32_e32 v15, 0.5, v91
	v_fmac_f32_e32 v49, 0.5, v92
	v_pk_add_f32 v[40:41], v[50:51], v[52:53]
	v_add_f32_e32 v20, v54, v15
	v_add_f32_e32 v21, v35, v49
	ds_write2_b64 v115, v[40:41], v[20:21] offset1:10
	v_pk_add_f32 v[20:21], v[26:27], v[24:25]
	v_mov_b32_e32 v91, v93
	v_pk_fma_f32 v[20:21], v[20:21], 0.5, v[16:17] op_sel_hi:[1,0,1] neg_lo:[1,0,0] neg_hi:[1,0,0]
	v_mul_f32_e32 v9, -0.5, v45
	v_pk_add_f32 v[40:41], v[20:21], v[32:33] op_sel:[0,1] op_sel_hi:[1,0] neg_lo:[0,1] neg_hi:[0,1]
	v_pk_add_f32 v[42:43], v[20:21], v[32:33] op_sel:[0,1] op_sel_hi:[1,0]
	v_pk_mul_f32 v[32:33], v[44:45], s[12:13] op_sel_hi:[0,1]
	v_pk_fma_f32 v[20:21], v[48:49], s[0:1], v[32:33]
	v_pk_fma_f32 v[32:33], v[48:49], s[0:1], v[32:33] op_sel_hi:[0,1,1] neg_lo:[0,0,1] neg_hi:[0,0,1]
	v_mov_b32_e32 v21, v33
	s_mov_b32 s1, 0xbf5db3d7
	v_pk_mul_f32 v[32:33], v[90:91], 0.5 op_sel_hi:[1,0]
	v_fmac_f32_e32 v9, 0x3f5db3d7, v11
	v_mul_f32_e32 v11, -0.5, v11
	v_sub_f32_e32 v48, v54, v15
	v_mov_b32_e32 v54, v34
	v_pk_fma_f32 v[90:91], v[90:91], s[0:1], v[32:33] op_sel:[0,0,1] op_sel_hi:[1,1,0] neg_lo:[0,0,1] neg_hi:[0,0,1]
	v_fmac_f32_e32 v11, 0xbf5db3d7, v45
	v_sub_f32_e32 v49, v35, v49
	v_mov_b32_e32 v44, v42
	v_mov_b32_e32 v45, v41
	v_pk_add_f32 v[32:33], v[54:55], v[90:91]
	v_pk_add_f32 v[34:35], v[50:51], v[52:53] neg_lo:[0,1] neg_hi:[0,1]
	v_mov_b32_e32 v92, v13
	ds_write2_b64 v115, v[32:33], v[34:35] offset0:20 offset1:30
	v_sub_f32_e32 v34, v40, v9
	v_pk_add_f32 v[32:33], v[44:45], v[20:21] neg_lo:[0,1] neg_hi:[0,1]
	v_sub_f32_e32 v35, v43, v11
	v_pk_add_f32 v[50:51], v[54:55], v[90:91] neg_lo:[0,1] neg_hi:[0,1]
	ds_write2_b64 v115, v[48:49], v[50:51] offset0:40 offset1:50
	s_and_saveexec_b64 s[0:1], vcc
	s_cbranch_execz .LBB0_5
; %bb.4:
	v_pk_add_f32 v[16:17], v[16:17], v[26:27]
	v_pk_add_f32 v[18:19], v[18:19], v[30:31]
	;; [unrolled: 1-line block ×4, first 2 shown]
	v_mov_b32_e32 v26, v17
	v_pk_add_f32 v[24:25], v[24:25], v[38:39]
	v_pk_add_f32 v[18:19], v[18:19], v[22:23]
	v_pk_add_f32 v[28:29], v[26:27], v[24:25] neg_lo:[0,1] neg_hi:[0,1]
	v_add_f32_e32 v27, v43, v11
	v_pk_add_f32 v[22:23], v[16:17], v[18:19] neg_lo:[0,1] neg_hi:[0,1]
	v_pk_add_f32 v[24:25], v[26:27], v[24:25]
	v_pk_add_f32 v[16:17], v[16:17], v[18:19]
	v_add_f32_e32 v26, v40, v9
	v_add_lshl_u32 v9, v116, v65, 3
	v_mov_b32_e32 v17, v24
	v_pk_add_f32 v[18:19], v[44:45], v[20:21]
	v_mov_b32_e32 v23, v28
	ds_write2_b64 v9, v[16:17], v[18:19] offset1:10
	ds_write2_b64 v9, v[26:27], v[22:23] offset0:20 offset1:30
	ds_write2_b64 v9, v[32:33], v[34:35] offset0:40 offset1:50
.LBB0_5:
	s_or_b64 exec, exec, s[0:1]
	s_movk_i32 s0, 0x48
	v_mov_b64_e32 v[16:17], s[10:11]
	v_mad_u64_u32 v[36:37], s[0:1], v114, s0, v[16:17]
	s_waitcnt lgkmcnt(0)
	; wave barrier
	s_waitcnt lgkmcnt(0)
	global_load_dwordx4 v[16:19], v[36:37], off offset:448
	global_load_dwordx4 v[20:23], v[36:37], off offset:432
	;; [unrolled: 1-line block ×4, first 2 shown]
	global_load_dwordx2 v[90:91], v[36:37], off offset:464
	v_add_u32_e32 v48, 0x400, v62
	ds_read2_b64 v[36:39], v62 offset0:120 offset1:180
	v_add_u32_e32 v97, 0x800, v62
	v_add_u32_e32 v95, 0xc00, v62
	ds_read2_b64 v[40:43], v62 offset1:60
	ds_read2_b64 v[50:53], v48 offset0:112 offset1:172
	ds_read2_b64 v[102:105], v97 offset0:104 offset1:164
	;; [unrolled: 1-line block ×3, first 2 shown]
	s_mov_b32 s10, 0x3f737871
	s_mov_b32 s12, 0x3f167918
	;; [unrolled: 1-line block ×6, first 2 shown]
	v_mov_b32_e32 v13, v12
	v_mov_b32_e32 v93, v92
	;; [unrolled: 1-line block ×7, first 2 shown]
	s_waitcnt vmcnt(4)
	v_mov_b32_e32 v94, v19
	s_waitcnt vmcnt(3)
	v_mov_b32_e32 v96, v23
	;; [unrolled: 2-line block ×4, first 2 shown]
	s_waitcnt lgkmcnt(4)
	v_pk_mul_f32 v[44:45], v[38:39], v[24:25] op_sel:[0,1]
	s_waitcnt lgkmcnt(2)
	v_pk_mul_f32 v[54:55], v[52:53], v[20:21] op_sel:[0,1]
	;; [unrolled: 2-line block ×3, first 2 shown]
	s_waitcnt vmcnt(0) lgkmcnt(0)
	v_pk_mul_f32 v[112:113], v[108:109], v[90:91] op_sel:[0,1]
	v_pk_mul_f32 v[118:119], v[42:43], v[28:29] op_sel:[0,1]
	v_pk_mul_f32 v[120:121], v[36:37], v[100:101] op_sel_hi:[1,0]
	v_pk_fma_f32 v[122:123], v[38:39], v[24:25], v[44:45] op_sel:[0,0,1] op_sel_hi:[1,1,0] neg_lo:[0,0,1] neg_hi:[0,0,1]
	v_pk_fma_f32 v[38:39], v[38:39], v[24:25], v[44:45] op_sel:[0,0,1] op_sel_hi:[1,0,0]
	v_pk_mul_f32 v[44:45], v[50:51], v[98:99] op_sel_hi:[1,0]
	v_pk_fma_f32 v[124:125], v[52:53], v[20:21], v[54:55] op_sel:[0,0,1] op_sel_hi:[1,1,0] neg_lo:[0,0,1] neg_hi:[0,0,1]
	v_pk_fma_f32 v[52:53], v[52:53], v[20:21], v[54:55] op_sel:[0,0,1] op_sel_hi:[1,0,0]
	v_pk_mul_f32 v[54:55], v[102:103], v[96:97] op_sel_hi:[1,0]
	v_pk_fma_f32 v[126:127], v[104:105], v[16:17], v[110:111] op_sel:[0,0,1] op_sel_hi:[1,1,0] neg_lo:[0,0,1] neg_hi:[0,0,1]
	v_pk_fma_f32 v[104:105], v[104:105], v[16:17], v[110:111] op_sel:[0,0,1] op_sel_hi:[1,0,0]
	v_pk_mul_f32 v[110:111], v[106:107], v[94:95] op_sel_hi:[1,0]
	v_pk_fma_f32 v[128:129], v[108:109], v[90:91], v[112:113] op_sel:[0,0,1] op_sel_hi:[1,1,0] neg_lo:[0,0,1] neg_hi:[0,0,1]
	v_pk_fma_f32 v[108:109], v[108:109], v[90:91], v[112:113] op_sel:[0,0,1] op_sel_hi:[1,0,0]
	v_pk_fma_f32 v[112:113], v[42:43], v[28:29], v[118:119] op_sel:[0,0,1] op_sel_hi:[1,1,0] neg_lo:[0,0,1] neg_hi:[0,0,1]
	v_pk_fma_f32 v[42:43], v[42:43], v[28:29], v[118:119] op_sel:[0,0,1] op_sel_hi:[1,0,0]
	v_pk_fma_f32 v[118:119], v[36:37], v[30:31], v[120:121] op_sel:[0,0,1] op_sel_hi:[1,1,0] neg_lo:[0,0,1] neg_hi:[0,0,1]
	v_pk_fma_f32 v[36:37], v[36:37], v[30:31], v[120:121] op_sel:[0,0,1] op_sel_hi:[1,0,0]
	;; [unrolled: 2-line block ×5, first 2 shown]
	v_mov_b32_e32 v123, v39
	v_mov_b32_e32 v125, v53
	;; [unrolled: 1-line block ×9, first 2 shown]
	v_pk_add_f32 v[36:37], v[124:125], v[126:127]
	v_pk_add_f32 v[38:39], v[122:123], v[128:129] neg_lo:[0,1] neg_hi:[0,1]
	v_pk_add_f32 v[42:43], v[122:123], v[124:125] neg_lo:[0,1] neg_hi:[0,1]
	;; [unrolled: 1-line block ×6, first 2 shown]
	v_pk_fma_f32 v[36:37], v[36:37], 0.5, v[112:113] op_sel_hi:[1,0,1] neg_lo:[1,0,0] neg_hi:[1,0,0]
	v_pk_add_f32 v[42:43], v[42:43], v[44:45]
	v_pk_mul_f32 v[44:45], v[38:39], s[10:11] op_sel_hi:[1,0]
	v_pk_mul_f32 v[110:111], v[52:53], s[12:13] op_sel_hi:[1,0]
	v_pk_add_f32 v[54:55], v[54:55], v[104:105]
	v_pk_add_f32 v[104:105], v[36:37], v[44:45] op_sel:[0,1] op_sel_hi:[1,0]
	v_pk_add_f32 v[36:37], v[36:37], v[44:45] op_sel:[0,1] op_sel_hi:[1,0] neg_lo:[0,1] neg_hi:[0,1]
	v_pk_add_f32 v[106:107], v[120:121], v[50:51]
	v_pk_add_f32 v[108:109], v[118:119], v[102:103] neg_lo:[0,1] neg_hi:[0,1]
	v_pk_add_f32 v[36:37], v[36:37], v[110:111] op_sel:[0,1] op_sel_hi:[1,0] neg_lo:[0,1] neg_hi:[0,1]
	v_pk_add_f32 v[104:105], v[104:105], v[110:111] op_sel:[0,1] op_sel_hi:[1,0]
	v_pk_add_f32 v[130:131], v[120:121], v[50:51] neg_lo:[0,1] neg_hi:[0,1]
	v_pk_fma_f32 v[44:45], v[106:107], 0.5, v[40:41] op_sel_hi:[1,0,1] neg_lo:[1,0,0] neg_hi:[1,0,0]
	v_pk_mul_f32 v[106:107], v[108:109], s[10:11] op_sel_hi:[1,0]
	v_mov_b32_e32 v110, v104
	v_mov_b32_e32 v111, v37
	v_pk_mul_f32 v[132:133], v[130:131], s[12:13] op_sel_hi:[1,0]
	v_pk_add_f32 v[134:135], v[44:45], v[106:107] op_sel:[0,1] op_sel_hi:[1,0]
	v_pk_add_f32 v[44:45], v[44:45], v[106:107] op_sel:[0,1] op_sel_hi:[1,0] neg_lo:[0,1] neg_hi:[0,1]
	v_pk_fma_f32 v[110:111], v[42:43], s[14:15], v[110:111] op_sel_hi:[1,0,1]
	v_pk_add_f32 v[44:45], v[44:45], v[132:133] op_sel:[0,1] op_sel_hi:[1,0] neg_lo:[0,1] neg_hi:[0,1]
	v_pk_add_f32 v[106:107], v[134:135], v[132:133] op_sel:[0,1] op_sel_hi:[1,0]
	v_pk_mul_f32 v[132:133], v[110:111], s[12:13] op_sel_hi:[1,0]
	v_mov_b32_e32 v136, v106
	v_pk_fma_f32 v[134:135], v[110:111], s[16:17], v[132:133] op_sel:[0,0,1] op_sel_hi:[1,0,0]
	v_pk_fma_f32 v[110:111], v[110:111], s[16:17], v[132:133] op_sel:[0,0,1] op_sel_hi:[1,0,0] neg_lo:[0,0,1] neg_hi:[0,0,1]
	v_pk_add_f32 v[132:133], v[112:113], v[122:123]
	v_mov_b32_e32 v135, v111
	v_pk_add_f32 v[110:111], v[40:41], v[118:119]
	v_pk_add_f32 v[132:133], v[132:133], v[124:125]
	;; [unrolled: 1-line block ×5, first 2 shown]
	v_mov_b32_e32 v137, v45
	v_pk_add_f32 v[110:111], v[110:111], v[102:103]
	v_pk_add_f32 v[132:133], v[132:133], v[128:129]
	v_pk_fma_f32 v[136:137], v[54:55], s[14:15], v[136:137] op_sel_hi:[1,0,1]
	v_pk_add_f32 v[138:139], v[110:111], v[132:133]
	v_pk_add_f32 v[140:141], v[136:137], v[134:135]
	ds_write2_b64 v62, v[138:139], v[140:141] offset1:60
	v_pk_add_f32 v[138:139], v[118:119], v[102:103]
	v_pk_add_f32 v[118:119], v[120:121], v[118:119] neg_lo:[0,1] neg_hi:[0,1]
	v_pk_add_f32 v[50:51], v[50:51], v[102:103] neg_lo:[0,1] neg_hi:[0,1]
	v_pk_add_f32 v[102:103], v[122:123], v[128:129]
	v_pk_add_f32 v[50:51], v[118:119], v[50:51]
	v_pk_fma_f32 v[102:103], v[102:103], 0.5, v[112:113] op_sel_hi:[1,0,1] neg_lo:[1,0,0] neg_hi:[1,0,0]
	v_pk_add_f32 v[112:113], v[124:125], v[122:123] neg_lo:[0,1] neg_hi:[0,1]
	v_pk_add_f32 v[118:119], v[126:127], v[128:129] neg_lo:[0,1] neg_hi:[0,1]
	v_pk_fma_f32 v[40:41], v[138:139], 0.5, v[40:41] op_sel_hi:[1,0,1] neg_lo:[1,0,0] neg_hi:[1,0,0]
	v_pk_add_f32 v[112:113], v[112:113], v[118:119]
	v_pk_mul_f32 v[118:119], v[130:131], s[10:11] op_sel_hi:[1,0]
	v_pk_mul_f32 v[52:53], v[52:53], s[10:11] op_sel_hi:[1,0]
	v_pk_add_f32 v[120:121], v[40:41], v[118:119] op_sel:[0,1] op_sel_hi:[1,0] neg_lo:[0,1] neg_hi:[0,1]
	v_pk_add_f32 v[40:41], v[40:41], v[118:119] op_sel:[0,1] op_sel_hi:[1,0]
	v_pk_add_f32 v[118:119], v[102:103], v[52:53] op_sel:[0,1] op_sel_hi:[1,0] neg_lo:[0,1] neg_hi:[0,1]
	v_pk_add_f32 v[52:53], v[102:103], v[52:53] op_sel:[0,1] op_sel_hi:[1,0]
	v_pk_mul_f32 v[38:39], v[38:39], s[12:13] op_sel_hi:[1,0]
	v_pk_mul_f32 v[108:109], v[108:109], s[12:13] op_sel_hi:[1,0]
	v_pk_add_f32 v[52:53], v[52:53], v[38:39] op_sel:[0,1] op_sel_hi:[1,0] neg_lo:[0,1] neg_hi:[0,1]
	v_pk_add_f32 v[38:39], v[118:119], v[38:39] op_sel:[0,1] op_sel_hi:[1,0]
	v_mov_b32_e32 v103, v53
	v_mov_b32_e32 v102, v38
	v_pk_fma_f32 v[102:103], v[112:113], s[14:15], v[102:103] op_sel_hi:[1,0,1]
	v_mov_b32_e32 v53, v39
	v_pk_mul_f32 v[118:119], v[102:103], s[10:11] op_sel_hi:[1,0]
	v_pk_add_f32 v[40:41], v[40:41], v[108:109] op_sel:[0,1] op_sel_hi:[1,0] neg_lo:[0,1] neg_hi:[0,1]
	v_pk_add_f32 v[108:109], v[120:121], v[108:109] op_sel:[0,1] op_sel_hi:[1,0]
	v_pk_fma_f32 v[120:121], v[102:103], s[14:15], v[118:119] op_sel:[0,0,1] op_sel_hi:[1,0,0]
	v_pk_fma_f32 v[102:103], v[102:103], s[14:15], v[118:119] op_sel:[0,0,1] op_sel_hi:[1,0,0] neg_lo:[0,0,1] neg_hi:[0,0,1]
	v_pk_fma_f32 v[52:53], v[112:113], s[14:15], v[52:53] op_sel_hi:[1,0,1]
	v_mov_b32_e32 v121, v103
	v_mov_b32_e32 v102, v108
	v_mov_b32_e32 v103, v41
	v_mov_b32_e32 v41, v109
	v_pk_mul_f32 v[108:109], v[52:53], s[14:15] op_sel_hi:[1,0]
	v_mov_b32_e32 v37, v105
	v_pk_fma_f32 v[102:103], v[50:51], s[14:15], v[102:103] op_sel_hi:[1,0,1]
	v_pk_fma_f32 v[40:41], v[50:51], s[14:15], v[40:41] op_sel_hi:[1,0,1]
	v_pk_fma_f32 v[52:53], v[52:53], s[0:1], v[108:109] op_sel:[0,0,1] op_sel_hi:[1,1,0] neg_lo:[0,0,1] neg_hi:[0,0,1]
	v_pk_fma_f32 v[36:37], v[42:43], s[14:15], v[36:37] op_sel_hi:[1,0,1]
	v_lshl_add_u64 v[50:51], s[8:9], 0, v[62:63]
	v_pk_add_f32 v[38:39], v[102:103], v[120:121]
	v_pk_add_f32 v[108:109], v[40:41], v[52:53] op_sel:[0,1] op_sel_hi:[1,0]
	v_mov_b32_e32 v45, v107
	s_mov_b32 s8, 0xbf167918
	s_mov_b32 s9, s12
	v_pk_mul_f32 v[42:43], v[36:37], s[16:17] op_sel_hi:[1,0]
	ds_write2_b64 v62, v[38:39], v[108:109] offset0:120 offset1:180
	v_pk_fma_f32 v[38:39], v[54:55], s[14:15], v[44:45] op_sel_hi:[1,0,1]
	v_pk_fma_f32 v[36:37], v[36:37], s[8:9], v[42:43] op_sel:[0,0,1] op_sel_hi:[1,1,0] neg_lo:[0,0,1] neg_hi:[0,0,1]
	v_pk_add_f32 v[40:41], v[40:41], v[52:53] op_sel:[0,1] op_sel_hi:[1,0] neg_lo:[0,1] neg_hi:[0,1]
	v_pk_add_f32 v[42:43], v[38:39], v[36:37] op_sel:[0,1] op_sel_hi:[1,0]
	v_pk_add_f32 v[36:37], v[38:39], v[36:37] op_sel:[0,1] op_sel_hi:[1,0] neg_lo:[0,1] neg_hi:[0,1]
	s_movk_i32 s0, 0x1000
	v_pk_add_f32 v[44:45], v[110:111], v[132:133] neg_lo:[0,1] neg_hi:[0,1]
	ds_write2_b64 v95, v[40:41], v[36:37] offset0:96 offset1:156
	v_add_co_u32_e64 v36, s[0:1], s0, v50
	ds_write2_b64 v48, v[42:43], v[44:45] offset0:112 offset1:172
	v_pk_add_f32 v[42:43], v[136:137], v[134:135] neg_lo:[0,1] neg_hi:[0,1]
	v_pk_add_f32 v[44:45], v[102:103], v[120:121] neg_lo:[0,1] neg_hi:[0,1]
	v_addc_co_u32_e64 v37, s[0:1], 0, v51, s[0:1]
	ds_write2_b64 v97, v[42:43], v[44:45] offset0:104 offset1:164
	s_waitcnt lgkmcnt(0)
	; wave barrier
	s_waitcnt lgkmcnt(0)
	global_load_dwordx2 v[40:41], v[36:37], off offset:704
	s_mov_b64 s[0:1], 0x12c0
	v_lshl_add_u64 v[36:37], v[50:51], 0, s[0:1]
	global_load_dwordx2 v[42:43], v[36:37], off offset:480
	global_load_dwordx2 v[44:45], v[36:37], off offset:960
	;; [unrolled: 1-line block ×8, first 2 shown]
	s_movk_i32 s0, 0x2000
	v_add_co_u32_e64 v36, s[0:1], s0, v50
	s_nop 1
	v_addc_co_u32_e64 v37, s[0:1], 0, v51, s[0:1]
	global_load_dwordx2 v[50:51], v[36:37], off offset:928
	ds_read2_b64 v[36:39], v62 offset1:60
	s_mov_b32 s0, 0xbe9e377a
	s_mov_b32 s1, s10
	s_waitcnt vmcnt(9) lgkmcnt(0)
	v_mul_f32_e32 v9, v37, v41
	v_mul_f32_e32 v111, v36, v41
	v_fma_f32 v110, v36, v40, -v9
	v_fmac_f32_e32 v111, v37, v40
	s_waitcnt vmcnt(8)
	v_mul_f32_e32 v9, v39, v43
	v_mul_f32_e32 v37, v38, v43
	v_fma_f32 v36, v38, v42, -v9
	v_fmac_f32_e32 v37, v39, v42
	ds_write2_b64 v62, v[110:111], v[36:37] offset1:60
	ds_read2_b64 v[36:39], v62 offset0:120 offset1:180
	ds_read2_b64 v[40:43], v48 offset0:112 offset1:172
	s_waitcnt vmcnt(7) lgkmcnt(1)
	v_mul_f32_e32 v9, v37, v45
	v_mul_f32_e32 v111, v36, v45
	v_fma_f32 v110, v36, v44, -v9
	v_fmac_f32_e32 v111, v37, v44
	s_waitcnt vmcnt(6)
	v_mul_f32_e32 v9, v39, v53
	v_mul_f32_e32 v37, v38, v53
	v_fma_f32 v36, v38, v52, -v9
	v_fmac_f32_e32 v37, v39, v52
	s_waitcnt vmcnt(5) lgkmcnt(0)
	v_mul_f32_e32 v9, v41, v55
	v_mul_f32_e32 v45, v40, v55
	ds_write2_b64 v62, v[110:111], v[36:37] offset0:120 offset1:180
	v_fma_f32 v44, v40, v54, -v9
	v_fmac_f32_e32 v45, v41, v54
	s_waitcnt vmcnt(4)
	v_mul_f32_e32 v9, v43, v103
	ds_read2_b64 v[36:39], v97 offset0:104 offset1:164
	v_mul_f32_e32 v41, v42, v103
	v_fma_f32 v40, v42, v102, -v9
	v_fmac_f32_e32 v41, v43, v102
	ds_write2_b64 v48, v[44:45], v[40:41] offset0:112 offset1:172
	ds_read2_b64 v[40:43], v95 offset0:96 offset1:156
	s_waitcnt vmcnt(3) lgkmcnt(2)
	v_mul_f32_e32 v9, v37, v105
	v_mul_f32_e32 v45, v36, v105
	v_fma_f32 v44, v36, v104, -v9
	v_fmac_f32_e32 v45, v37, v104
	s_waitcnt vmcnt(2)
	v_mul_f32_e32 v9, v39, v107
	v_mul_f32_e32 v37, v38, v107
	v_fma_f32 v36, v38, v106, -v9
	v_fmac_f32_e32 v37, v39, v106
	s_waitcnt vmcnt(1) lgkmcnt(0)
	v_mul_f32_e32 v9, v41, v109
	ds_write2_b64 v97, v[44:45], v[36:37] offset0:104 offset1:164
	v_fma_f32 v36, v40, v108, -v9
	v_mul_f32_e32 v37, v40, v109
	s_waitcnt vmcnt(0)
	v_mul_f32_e32 v9, v43, v51
	v_mul_f32_e32 v39, v42, v51
	v_fmac_f32_e32 v37, v41, v108
	v_fma_f32 v38, v42, v50, -v9
	v_fmac_f32_e32 v39, v43, v50
	ds_write2_b64 v95, v[36:37], v[38:39] offset0:96 offset1:156
	s_waitcnt lgkmcnt(0)
	; wave barrier
	s_waitcnt lgkmcnt(0)
	ds_read2_b64 v[36:39], v62 offset1:60
	ds_read2_b64 v[40:43], v48 offset0:112 offset1:172
	ds_read2_b64 v[50:53], v97 offset0:104 offset1:164
	;; [unrolled: 1-line block ×4, first 2 shown]
	s_waitcnt lgkmcnt(0)
	; wave barrier
	s_waitcnt lgkmcnt(0)
	v_pk_add_f32 v[44:45], v[40:41], v[50:51]
	v_pk_add_f32 v[112:113], v[40:41], v[50:51] neg_lo:[0,1] neg_hi:[0,1]
	v_pk_add_f32 v[54:55], v[102:103], v[106:107] neg_lo:[0,1] neg_hi:[0,1]
	v_pk_fma_f32 v[44:45], v[44:45], 0.5, v[36:37] op_sel_hi:[1,0,1] neg_lo:[1,0,0] neg_hi:[1,0,0]
	v_pk_mul_f32 v[110:111], v[54:55], s[10:11] op_sel_hi:[1,0]
	v_pk_add_f32 v[120:121], v[102:103], v[40:41] neg_lo:[0,1] neg_hi:[0,1]
	v_pk_add_f32 v[122:123], v[106:107], v[50:51] neg_lo:[0,1] neg_hi:[0,1]
	v_pk_mul_f32 v[118:119], v[112:113], s[12:13] op_sel_hi:[1,0]
	v_pk_add_f32 v[120:121], v[120:121], v[122:123]
	v_pk_add_f32 v[122:123], v[44:45], v[110:111] op_sel:[0,1] op_sel_hi:[1,0] neg_lo:[0,1] neg_hi:[0,1]
	v_pk_add_f32 v[44:45], v[44:45], v[110:111] op_sel:[0,1] op_sel_hi:[1,0]
	v_pk_add_f32 v[110:111], v[122:123], v[118:119] op_sel:[0,1] op_sel_hi:[1,0] neg_lo:[0,1] neg_hi:[0,1]
	v_pk_add_f32 v[44:45], v[44:45], v[118:119] op_sel:[0,1] op_sel_hi:[1,0]
	v_pk_add_f32 v[118:119], v[40:41], v[102:103] neg_lo:[0,1] neg_hi:[0,1]
	v_pk_add_f32 v[122:123], v[50:51], v[106:107] neg_lo:[0,1] neg_hi:[0,1]
	v_pk_mul_f32 v[112:113], v[112:113], s[10:11] op_sel_hi:[1,0]
	v_pk_add_f32 v[118:119], v[118:119], v[122:123]
	v_pk_add_f32 v[122:123], v[102:103], v[106:107]
	v_pk_mul_f32 v[54:55], v[54:55], s[12:13] op_sel_hi:[1,0]
	v_pk_fma_f32 v[122:123], v[122:123], 0.5, v[36:37] op_sel_hi:[1,0,1] neg_lo:[1,0,0] neg_hi:[1,0,0]
	v_pk_add_f32 v[36:37], v[36:37], v[102:103]
	v_pk_add_f32 v[124:125], v[122:123], v[112:113] op_sel:[0,1] op_sel_hi:[1,0]
	v_pk_add_f32 v[112:113], v[122:123], v[112:113] op_sel:[0,1] op_sel_hi:[1,0] neg_lo:[0,1] neg_hi:[0,1]
	v_pk_add_f32 v[102:103], v[104:105], v[108:109] neg_lo:[0,1] neg_hi:[0,1]
	v_pk_add_f32 v[112:113], v[112:113], v[54:55] op_sel:[0,1] op_sel_hi:[1,0]
	v_pk_add_f32 v[54:55], v[124:125], v[54:55] op_sel:[0,1] op_sel_hi:[1,0] neg_lo:[0,1] neg_hi:[0,1]
	v_mov_b32_e32 v123, v113
	v_mov_b32_e32 v122, v54
	;; [unrolled: 1-line block ×5, first 2 shown]
	v_pk_fma_f32 v[122:123], v[118:119], s[14:15], v[122:123] op_sel_hi:[1,0,1]
	v_pk_fma_f32 v[118:119], v[118:119], s[14:15], v[112:113] op_sel_hi:[1,0,1]
	v_mov_b32_e32 v45, v111
	v_mov_b32_e32 v110, v42
	;; [unrolled: 1-line block ×5, first 2 shown]
	v_pk_add_f32 v[110:111], v[110:111], v[112:113] neg_lo:[0,1] neg_hi:[0,1]
	v_pk_fma_f32 v[54:55], v[120:121], s[14:15], v[54:55] op_sel_hi:[1,0,1]
	v_mov_b32_e32 v112, v111
	v_pk_fma_f32 v[44:45], v[120:121], s[14:15], v[44:45] op_sel_hi:[1,0,1]
	v_pk_add_f32 v[110:111], v[110:111], v[112:113]
	v_mov_b32_e32 v112, v43
	v_mov_b32_e32 v113, v53
	;; [unrolled: 1-line block ×4, first 2 shown]
	v_pk_add_f32 v[112:113], v[112:113], v[120:121] neg_lo:[0,1] neg_hi:[0,1]
	v_pk_add_f32 v[36:37], v[36:37], v[40:41]
	v_mov_b32_e32 v120, v113
	v_pk_add_f32 v[120:121], v[112:113], v[120:121]
	v_pk_add_f32 v[112:113], v[104:105], v[108:109]
	v_pk_add_f32 v[40:41], v[42:43], v[52:53] neg_lo:[0,1] neg_hi:[0,1]
	v_fma_f32 v19, -0.5, v112, v38
	v_fma_f32 v23, -0.5, v113, v39
	v_pk_add_f32 v[112:113], v[42:43], v[52:53]
	v_mov_b32_e32 v111, v103
	v_pk_fma_f32 v[124:125], v[112:113], 0.5, v[38:39] op_sel_hi:[1,0,1] neg_lo:[1,0,0] neg_hi:[1,0,0]
	v_pk_add_f32 v[38:39], v[38:39], v[104:105]
	s_mov_b32 s15, s12
	v_pk_add_f32 v[38:39], v[38:39], v[42:43]
	v_pk_add_f32 v[104:105], v[104:105], v[42:43] neg_lo:[0,1] neg_hi:[0,1]
	v_pk_add_f32 v[38:39], v[38:39], v[52:53]
	v_pk_add_f32 v[36:37], v[36:37], v[50:51]
	v_pk_add_f32 v[42:43], v[108:109], v[52:53] neg_lo:[0,1] neg_hi:[0,1]
	v_pk_add_f32 v[108:109], v[38:39], v[108:109]
	v_pk_mul_f32 v[38:39], v[110:111], s[14:15]
	v_fmamk_f32 v27, v41, 0x3f737871, v19
	v_fmac_f32_e32 v19, 0xbf737871, v41
	v_mov_b32_e32 v121, v102
	v_pk_add_f32 v[106:107], v[36:37], v[106:107]
	v_pk_fma_f32 v[36:37], v[102:103], s[10:11], v[124:125] op_sel:[1,0,0] op_sel_hi:[0,0,1]
	v_pk_mul_f32 v[52:53], v[40:41], s[12:13] op_sel_hi:[1,0]
	v_pk_fma_f32 v[102:103], v[102:103], s[10:11], v[124:125] op_sel:[1,0,0] op_sel_hi:[0,0,1] neg_lo:[1,0,0] neg_hi:[1,0,0]
	v_sub_f32_e32 v27, v27, v39
	v_add_f32_e32 v19, v39, v19
	v_pk_mul_f32 v[50:51], v[120:121], s[14:15]
	v_pk_add_f32 v[36:37], v[52:53], v[36:37] op_sel:[1,0] op_sel_hi:[0,1]
	v_pk_add_f32 v[42:43], v[104:105], v[42:43]
	v_add_f32_e32 v110, v38, v27
	v_add_f32_e32 v120, v38, v19
	v_pk_add_f32 v[38:39], v[102:103], v[52:53] op_sel:[0,1] op_sel_hi:[1,0] neg_lo:[0,1] neg_hi:[0,1]
	v_fmamk_f32 v19, v40, 0xbf737871, v23
	v_pk_fma_f32 v[104:105], v[42:43], s[14:15], v[36:37] op_sel_hi:[1,0,1]
	v_mov_b32_e32 v36, v38
	v_add_f32_e32 v19, v51, v19
	v_fmac_f32_e32 v23, 0x3f737871, v40
	v_pk_fma_f32 v[36:37], v[42:43], s[14:15], v[36:37] op_sel_hi:[1,0,1]
	v_pk_fma_f32 v[42:43], v[42:43], s[14:15], v[38:39] op_sel_hi:[1,0,1]
	v_add_f32_e32 v38, v50, v19
	v_sub_f32_e32 v19, v23, v51
	v_add_f32_e32 v40, v50, v19
	v_pk_mul_f32 v[50:51], v[36:37], s[12:13] op_sel_hi:[1,0]
	s_mov_b32 s11, s14
	v_pk_fma_f32 v[52:53], v[36:37], s[16:17], v[50:51] op_sel:[0,0,1] op_sel_hi:[1,0,0] neg_lo:[0,0,1] neg_hi:[0,0,1]
	v_pk_fma_f32 v[36:37], v[36:37], s[16:17], v[50:51] op_sel:[0,0,1] op_sel_hi:[1,0,0]
	s_mov_b32 s15, s10
	v_mov_b32_e32 v53, v37
	v_pk_mul_f32 v[36:37], v[38:39], s[10:11] op_sel_hi:[0,1]
	v_pk_mul_f32 v[40:41], v[40:41], s[10:11] op_sel_hi:[0,1]
	v_pk_fma_f32 v[102:103], v[110:111], s[14:15], v[36:37] neg_lo:[0,0,1] neg_hi:[0,0,1]
	v_pk_fma_f32 v[36:37], v[110:111], s[14:15], v[36:37] op_sel_hi:[0,1,1]
	v_pk_fma_f32 v[110:111], v[120:121], s[0:1], v[40:41] op_sel_hi:[0,1,1] neg_lo:[0,0,1] neg_hi:[0,0,1]
	s_mov_b32 s0, 0xbf4f1bbd
	s_mov_b32 s9, s0
	v_pk_add_f32 v[50:51], v[106:107], v[108:109]
	v_mov_b32_e32 v103, v37
	v_pk_add_f32 v[36:37], v[54:55], v[52:53] neg_lo:[0,1] neg_hi:[0,1]
	s_mov_b32 s1, s12
	v_pk_mul_f32 v[40:41], v[42:43], s[8:9] op_sel:[1,0]
	v_pk_add_f32 v[52:53], v[54:55], v[52:53]
	v_pk_fma_f32 v[104:105], v[104:105], s[0:1], v[40:41] op_sel_hi:[0,1,1]
	ds_write_b128 v46, v[50:53]
	v_pk_add_f32 v[50:51], v[122:123], v[102:103]
	v_pk_add_f32 v[52:53], v[118:119], v[110:111]
	ds_write_b128 v46, v[50:53] offset:16
	v_pk_add_f32 v[50:51], v[44:45], v[104:105]
	v_pk_add_f32 v[52:53], v[106:107], v[108:109] neg_lo:[0,1] neg_hi:[0,1]
	v_pk_add_f32 v[38:39], v[122:123], v[102:103] neg_lo:[0,1] neg_hi:[0,1]
	;; [unrolled: 1-line block ×4, first 2 shown]
	ds_write_b128 v46, v[50:53] offset:32
	ds_write_b128 v46, v[36:39] offset:48
	;; [unrolled: 1-line block ×3, first 2 shown]
	s_waitcnt lgkmcnt(0)
	; wave barrier
	s_waitcnt lgkmcnt(0)
	ds_read2_b64 v[44:47], v62 offset1:100
	ds_read2_b64 v[52:55], v48 offset0:72 offset1:172
	ds_read2_b64 v[48:51], v97 offset0:144 offset1:244
	v_mov_b32_e32 v9, v8
	v_mov_b32_e32 v112, v82
	;; [unrolled: 1-line block ×8, first 2 shown]
	s_and_saveexec_b64 s[0:1], vcc
	s_cbranch_execz .LBB0_7
; %bb.6:
	ds_read2_b64 v[36:39], v62 offset0:60 offset1:160
	ds_read2_b64 v[40:43], v97 offset0:4 offset1:104
	;; [unrolled: 1-line block ×3, first 2 shown]
.LBB0_7:
	s_or_b64 exec, exec, s[0:1]
	s_waitcnt lgkmcnt(2)
	v_pk_mul_f32 v[92:93], v[92:93], v[46:47]
	s_waitcnt lgkmcnt(1)
	v_pk_mul_f32 v[88:89], v[88:89], v[52:53]
	v_pk_mul_f32 v[86:87], v[86:87], v[54:55]
	v_pk_fma_f32 v[118:119], v[12:13], v[46:47], v[92:93] op_sel:[0,0,1] op_sel_hi:[1,1,0]
	v_pk_fma_f32 v[12:13], v[12:13], v[46:47], v[92:93] op_sel:[0,0,1] op_sel_hi:[1,1,0] neg_lo:[0,0,1] neg_hi:[0,0,1]
	v_pk_fma_f32 v[46:47], v[14:15], v[52:53], v[88:89] op_sel:[0,0,1] op_sel_hi:[1,1,0]
	v_pk_fma_f32 v[14:15], v[14:15], v[52:53], v[88:89] op_sel:[0,0,1] op_sel_hi:[1,1,0] neg_lo:[0,0,1] neg_hi:[0,0,1]
	s_waitcnt lgkmcnt(0)
	v_pk_mul_f32 v[84:85], v[84:85], v[48:49]
	v_mov_b32_e32 v47, v15
	v_pk_fma_f32 v[14:15], v[8:9], v[54:55], v[86:87] op_sel:[0,0,1] op_sel_hi:[1,1,0]
	v_pk_fma_f32 v[8:9], v[8:9], v[54:55], v[86:87] op_sel:[0,0,1] op_sel_hi:[1,1,0] neg_lo:[0,0,1] neg_hi:[0,0,1]
	v_pk_mul_f32 v[82:83], v[82:83], v[50:51]
	v_mov_b32_e32 v15, v9
	v_pk_fma_f32 v[8:9], v[10:11], v[48:49], v[84:85] op_sel:[0,0,1] op_sel_hi:[1,1,0]
	v_pk_fma_f32 v[10:11], v[10:11], v[48:49], v[84:85] op_sel:[0,0,1] op_sel_hi:[1,1,0] neg_lo:[0,0,1] neg_hi:[0,0,1]
	v_pk_fma_f32 v[48:49], v[112:113], v[50:51], v[82:83] op_sel:[0,0,1] op_sel_hi:[1,1,0] neg_lo:[0,0,1] neg_hi:[0,0,1]
	v_mov_b32_e32 v9, v11
	v_pk_fma_f32 v[10:11], v[112:113], v[50:51], v[82:83] op_sel:[0,0,1] op_sel_hi:[1,1,0]
	s_mov_b32 s8, 0.5
	v_mov_b32_e32 v11, v49
	v_mov_b32_e32 v119, v13
	v_pk_add_f32 v[48:49], v[44:45], v[46:47]
	v_pk_add_f32 v[50:51], v[14:15], v[10:11]
	s_mov_b32 s9, 0x3f5db3d7
	v_pk_add_f32 v[48:49], v[48:49], v[8:9]
	v_mov_b32_e32 v12, v118
	v_pk_add_f32 v[52:53], v[14:15], v[10:11] neg_lo:[0,1] neg_hi:[0,1]
	v_pk_add_f32 v[14:15], v[118:119], v[14:15]
	v_fmac_f32_e32 v13, -0.5, v51
	v_pk_add_f32 v[54:55], v[46:47], v[8:9]
	v_pk_add_f32 v[8:9], v[46:47], v[8:9] neg_lo:[0,1] neg_hi:[0,1]
	s_mov_b32 s10, s9
	v_fmac_f32_e32 v12, -0.5, v50
	v_pk_add_f32 v[10:11], v[14:15], v[10:11]
	v_fmamk_f32 v14, v52, 0x3f5db3d7, v13
	v_pk_mul_f32 v[8:9], v[8:9], s[10:11] op_sel_hi:[1,0]
	s_mov_b32 s11, s8
	v_fmamk_f32 v50, v53, 0xbf5db3d7, v12
	v_pk_fma_f32 v[44:45], -0.5, v[54:55], v[44:45] op_sel_hi:[0,1,1]
	v_pk_mul_f32 v[14:15], v[14:15], s[10:11] op_sel_hi:[0,1]
	v_pk_add_f32 v[46:47], v[44:45], v[8:9] op_sel:[0,1] op_sel_hi:[1,0] neg_lo:[0,1] neg_hi:[0,1]
	v_pk_add_f32 v[8:9], v[44:45], v[8:9] op_sel:[0,1] op_sel_hi:[1,0]
	v_pk_fma_f32 v[54:55], v[50:51], s[8:9], v[14:15] neg_lo:[0,0,1] neg_hi:[0,0,1]
	v_pk_fma_f32 v[14:15], v[50:51], s[8:9], v[14:15] op_sel_hi:[0,1,1]
	v_mov_b32_e32 v44, v46
	v_mov_b32_e32 v45, v9
	;; [unrolled: 1-line block ×3, first 2 shown]
	v_fmac_f32_e32 v12, 0x3f5db3d7, v53
	v_fmac_f32_e32 v13, 0xbf5db3d7, v52
	v_pk_add_f32 v[52:53], v[48:49], v[10:11]
	v_pk_add_f32 v[14:15], v[44:45], v[54:55]
	s_waitcnt lgkmcnt(0)
	; wave barrier
	ds_write2_b64 v115, v[52:53], v[14:15] offset1:10
	v_mov_b32_e32 v14, v13
	s_mov_b32 s0, -0.5
	s_mov_b32 s1, s9
	v_pk_mul_f32 v[14:15], v[14:15], s[10:11] op_sel_hi:[0,1]
	v_pk_fma_f32 v[12:13], v[12:13], s[0:1], v[14:15] op_sel_hi:[0,1,1] neg_lo:[0,0,1] neg_hi:[0,0,1]
	v_mov_b32_e32 v9, v47
	v_pk_add_f32 v[14:15], v[8:9], v[12:13]
	v_pk_add_f32 v[10:11], v[48:49], v[10:11] neg_lo:[0,1] neg_hi:[0,1]
	v_mov_b32_e32 v29, v28
	v_mov_b32_e32 v109, v108
	v_mov_b32_e32 v31, v30
	v_mov_b32_e32 v101, v100
	v_mov_b32_e32 v25, v24
	v_mov_b32_e32 v107, v106
	v_mov_b32_e32 v27, v26
	v_mov_b32_e32 v99, v98
	v_mov_b32_e32 v21, v20
	v_mov_b32_e32 v105, v104
	v_mov_b32_e32 v23, v22
	v_mov_b32_e32 v97, v96
	v_mov_b32_e32 v17, v16
	v_mov_b32_e32 v103, v102
	v_mov_b32_e32 v19, v18
	v_mov_b32_e32 v95, v94
	v_mov_b32_e32 v110, v90
	v_mov_b32_e32 v111, v90
	v_mov_b32_e32 v90, v91
	ds_write2_b64 v115, v[14:15], v[10:11] offset0:20 offset1:30
	v_pk_add_f32 v[10:11], v[44:45], v[54:55] neg_lo:[0,1] neg_hi:[0,1]
	v_pk_add_f32 v[8:9], v[8:9], v[12:13] neg_lo:[0,1] neg_hi:[0,1]
	ds_write2_b64 v115, v[10:11], v[8:9] offset0:40 offset1:50
	s_and_saveexec_b64 s[12:13], vcc
	s_cbranch_execz .LBB0_9
; %bb.8:
	v_pk_mul_f32 v[8:9], v[2:3], v[40:41] op_sel:[0,1]
	v_pk_mul_f32 v[10:11], v[6:7], v[32:33] op_sel:[0,1]
	v_pk_fma_f32 v[46:47], v[2:3], v[40:41], v[8:9] op_sel:[0,0,1] op_sel_hi:[1,1,0]
	v_pk_fma_f32 v[2:3], v[2:3], v[40:41], v[8:9] op_sel:[0,0,1] op_sel_hi:[1,0,0] neg_lo:[1,0,0] neg_hi:[1,0,0]
	v_pk_mul_f32 v[14:15], v[4:5], v[42:43] op_sel:[0,1]
	v_mov_b32_e32 v44, v35
	v_mov_b32_e32 v47, v3
	v_pk_fma_f32 v[2:3], v[6:7], v[32:33], v[10:11] op_sel:[0,0,1] op_sel_hi:[1,1,0]
	v_pk_fma_f32 v[6:7], v[6:7], v[32:33], v[10:11] op_sel:[0,0,1] op_sel_hi:[1,0,0] neg_lo:[1,0,0] neg_hi:[1,0,0]
	v_pk_mul_f32 v[44:45], v[80:81], v[44:45] op_sel_hi:[1,0]
	v_mov_b32_e32 v3, v7
	v_pk_fma_f32 v[6:7], v[4:5], v[42:43], v[14:15] op_sel:[0,0,1] op_sel_hi:[1,1,0]
	v_pk_fma_f32 v[4:5], v[4:5], v[42:43], v[14:15] op_sel:[0,0,1] op_sel_hi:[1,0,0] neg_lo:[1,0,0] neg_hi:[1,0,0]
	v_pk_mul_f32 v[12:13], v[0:1], v[38:39] op_sel:[0,1]
	v_mov_b32_e32 v7, v5
	v_pk_fma_f32 v[4:5], v[80:81], v[34:35], v[44:45] op_sel:[0,0,1] op_sel_hi:[1,1,0]
	v_pk_fma_f32 v[8:9], v[80:81], v[34:35], v[44:45] op_sel:[0,0,1] op_sel_hi:[1,0,0] neg_lo:[1,0,0] neg_hi:[1,0,0]
	v_pk_fma_f32 v[10:11], v[0:1], v[38:39], v[12:13] op_sel:[0,0,1] op_sel_hi:[1,0,0]
	v_mov_b32_e32 v5, v9
	v_pk_fma_f32 v[0:1], v[0:1], v[38:39], v[12:13] op_sel:[0,0,1] op_sel_hi:[1,0,0] neg_lo:[1,0,0] neg_hi:[1,0,0]
	v_pk_add_f32 v[8:9], v[6:7], v[4:5]
	v_mov_b32_e32 v0, v10
	v_mov_b32_e32 v11, v1
	v_fmac_f32_e32 v0, -0.5, v8
	v_pk_add_f32 v[12:13], v[6:7], v[4:5] neg_lo:[0,1] neg_hi:[0,1]
	v_fmac_f32_e32 v1, -0.5, v9
	v_fmamk_f32 v8, v13, 0x3f5db3d7, v0
	v_fmamk_f32 v14, v12, 0xbf5db3d7, v1
	v_fmac_f32_e32 v0, 0xbf5db3d7, v13
	v_fmac_f32_e32 v1, 0x3f5db3d7, v12
	v_pk_add_f32 v[12:13], v[36:37], v[46:47]
	v_pk_add_f32 v[6:7], v[10:11], v[6:7]
	;; [unrolled: 1-line block ×4, first 2 shown]
	v_pk_add_f32 v[2:3], v[46:47], v[2:3] neg_lo:[0,1] neg_hi:[0,1]
	s_mov_b32 s14, s9
	v_pk_fma_f32 v[10:11], -0.5, v[10:11], v[36:37] op_sel_hi:[0,1,1]
	v_pk_mul_f32 v[2:3], v[2:3], s[14:15] op_sel_hi:[1,0]
	v_pk_add_f32 v[4:5], v[6:7], v[4:5]
	v_pk_add_f32 v[32:33], v[10:11], v[2:3] op_sel:[0,1] op_sel_hi:[1,0] neg_lo:[0,1] neg_hi:[0,1]
	v_pk_add_f32 v[2:3], v[10:11], v[2:3] op_sel:[0,1] op_sel_hi:[1,0]
	v_mov_b32_e32 v10, v32
	v_mov_b32_e32 v32, v1
	v_pk_mul_f32 v[34:35], v[32:33], s[10:11] op_sel_hi:[0,1]
	v_pk_fma_f32 v[36:37], v[0:1], s[8:9], v[34:35] neg_lo:[0,0,1] neg_hi:[0,0,1]
	v_pk_fma_f32 v[0:1], v[0:1], s[8:9], v[34:35] op_sel_hi:[0,1,1]
	v_mov_b32_e32 v11, v3
	v_mov_b32_e32 v37, v1
	v_add_lshl_u32 v48, v116, v65, 3
	v_pk_add_f32 v[6:7], v[12:13], v[4:5]
	v_pk_add_f32 v[0:1], v[10:11], v[36:37]
	ds_write2_b64 v48, v[6:7], v[0:1] offset1:10
	v_pk_mul_f32 v[0:1], v[14:15], s[10:11] op_sel_hi:[0,1]
	v_pk_fma_f32 v[0:1], v[8:9], s[0:1], v[0:1] op_sel_hi:[0,1,1] neg_lo:[0,0,1] neg_hi:[0,0,1]
	v_mov_b32_e32 v3, v33
	v_pk_add_f32 v[6:7], v[2:3], v[0:1]
	v_pk_add_f32 v[4:5], v[12:13], v[4:5] neg_lo:[0,1] neg_hi:[0,1]
	ds_write2_b64 v48, v[6:7], v[4:5] offset0:20 offset1:30
	v_pk_add_f32 v[4:5], v[10:11], v[36:37] neg_lo:[0,1] neg_hi:[0,1]
	v_pk_add_f32 v[0:1], v[2:3], v[0:1] neg_lo:[0,1] neg_hi:[0,1]
	ds_write2_b64 v48, v[4:5], v[0:1] offset0:40 offset1:50
.LBB0_9:
	s_or_b64 exec, exec, s[12:13]
	s_waitcnt lgkmcnt(0)
	; wave barrier
	s_waitcnt lgkmcnt(0)
	ds_read2_b64 v[4:7], v62 offset1:60
	ds_read2_b64 v[8:11], v62 offset0:120 offset1:180
	v_add_u32_e32 v50, 0x400, v62
	ds_read2_b64 v[12:15], v50 offset0:112 offset1:172
	v_add_u32_e32 v51, 0x800, v62
	s_waitcnt lgkmcnt(2)
	v_pk_mul_f32 v[40:41], v[108:109], v[6:7]
	ds_read2_b64 v[32:35], v51 offset0:104 offset1:164
	v_pk_fma_f32 v[42:43], v[28:29], v[6:7], v[40:41] op_sel:[0,0,1] op_sel_hi:[1,1,0]
	v_pk_fma_f32 v[6:7], v[28:29], v[6:7], v[40:41] op_sel:[0,0,1] op_sel_hi:[1,1,0] neg_lo:[0,0,1] neg_hi:[0,0,1]
	s_waitcnt lgkmcnt(2)
	v_pk_mul_f32 v[28:29], v[100:101], v[8:9]
	v_add_u32_e32 v52, 0xc00, v62
	v_pk_fma_f32 v[40:41], v[30:31], v[8:9], v[28:29] op_sel:[0,0,1] op_sel_hi:[1,1,0]
	v_pk_fma_f32 v[8:9], v[30:31], v[8:9], v[28:29] op_sel:[0,0,1] op_sel_hi:[1,1,0] neg_lo:[0,0,1] neg_hi:[0,0,1]
	ds_read2_b64 v[36:39], v52 offset0:96 offset1:156
	v_mov_b32_e32 v41, v9
	v_pk_mul_f32 v[8:9], v[106:107], v[10:11]
	v_mad_u64_u32 v[2:3], s[0:1], s6, v64, 0
	v_pk_fma_f32 v[28:29], v[24:25], v[10:11], v[8:9] op_sel:[0,0,1] op_sel_hi:[1,1,0]
	v_pk_fma_f32 v[8:9], v[24:25], v[10:11], v[8:9] op_sel:[0,0,1] op_sel_hi:[1,1,0] neg_lo:[0,0,1] neg_hi:[0,0,1]
	s_waitcnt lgkmcnt(2)
	v_pk_mul_f32 v[10:11], v[98:99], v[12:13]
	v_mov_b32_e32 v29, v9
	v_pk_fma_f32 v[24:25], v[26:27], v[12:13], v[10:11] op_sel:[0,0,1] op_sel_hi:[1,1,0]
	v_pk_fma_f32 v[10:11], v[26:27], v[12:13], v[10:11] op_sel:[0,0,1] op_sel_hi:[1,1,0] neg_lo:[0,0,1] neg_hi:[0,0,1]
	s_mov_b32 s0, 0x3e9e377a
	v_mov_b32_e32 v25, v11
	v_pk_mul_f32 v[10:11], v[104:105], v[14:15]
	s_mov_b32 s1, 0x3f167918
	v_pk_fma_f32 v[12:13], v[20:21], v[14:15], v[10:11] op_sel:[0,0,1] op_sel_hi:[1,1,0]
	v_pk_fma_f32 v[10:11], v[20:21], v[14:15], v[10:11] op_sel:[0,0,1] op_sel_hi:[1,1,0] neg_lo:[0,0,1] neg_hi:[0,0,1]
	s_waitcnt lgkmcnt(1)
	v_pk_mul_f32 v[14:15], v[96:97], v[32:33]
	v_mov_b32_e32 v44, v12
	v_pk_fma_f32 v[20:21], v[22:23], v[32:33], v[14:15] op_sel:[0,0,1] op_sel_hi:[1,1,0]
	v_pk_fma_f32 v[14:15], v[22:23], v[32:33], v[14:15] op_sel:[0,0,1] op_sel_hi:[1,1,0] neg_lo:[0,0,1] neg_hi:[0,0,1]
	v_mov_b32_e32 v13, v11
	v_mov_b32_e32 v21, v15
	v_pk_mul_f32 v[14:15], v[102:103], v[34:35]
	v_mov_b32_e32 v43, v7
	v_pk_fma_f32 v[22:23], v[16:17], v[34:35], v[14:15] op_sel:[0,0,1] op_sel_hi:[1,1,0]
	v_pk_fma_f32 v[14:15], v[16:17], v[34:35], v[14:15] op_sel:[0,0,1] op_sel_hi:[1,1,0] neg_lo:[0,0,1] neg_hi:[0,0,1]
	s_waitcnt lgkmcnt(0)
	v_pk_mul_f32 v[16:17], v[94:95], v[36:37]
	v_mov_b32_e32 v45, v22
	v_pk_fma_f32 v[26:27], v[18:19], v[36:37], v[16:17] op_sel:[0,0,1] op_sel_hi:[1,1,0]
	v_pk_fma_f32 v[16:17], v[18:19], v[36:37], v[16:17] op_sel:[0,0,1] op_sel_hi:[1,1,0] neg_lo:[0,0,1] neg_hi:[0,0,1]
	v_mov_b32_e32 v23, v15
	v_mov_b32_e32 v27, v17
	v_pk_mul_f32 v[16:17], v[90:91], v[38:39]
	v_pk_add_f32 v[32:33], v[12:13], v[22:23]
	v_pk_fma_f32 v[18:19], v[110:111], v[38:39], v[16:17] op_sel:[0,0,1] op_sel_hi:[1,1,0]
	v_pk_fma_f32 v[16:17], v[110:111], v[38:39], v[16:17] op_sel:[0,0,1] op_sel_hi:[1,1,0] neg_lo:[0,0,1] neg_hi:[0,0,1]
	v_mov_b32_e32 v38, v28
	v_mov_b32_e32 v39, v18
	v_pk_add_f32 v[46:47], v[38:39], v[44:45] neg_lo:[0,1] neg_hi:[0,1]
	v_mov_b32_e32 v19, v17
	v_mov_b32_e32 v6, v47
	v_pk_add_f32 v[36:37], v[12:13], v[22:23] neg_lo:[0,1] neg_hi:[0,1]
	v_pk_add_f32 v[46:47], v[46:47], v[6:7]
	v_fma_f32 v8, -0.5, v32, v42
	v_pk_add_f32 v[34:35], v[28:29], v[18:19] neg_lo:[0,1] neg_hi:[0,1]
	v_mov_b32_e32 v47, v37
	v_fmamk_f32 v10, v35, 0xbf737871, v8
	v_pk_mul_f32 v[46:47], v[46:47], s[0:1]
	v_fmac_f32_e32 v8, 0x3f737871, v35
	v_pk_add_f32 v[38:39], v[44:45], v[38:39] neg_lo:[0,1] neg_hi:[0,1]
	v_sub_f32_e32 v6, v10, v47
	v_add_f32_e32 v8, v47, v8
	v_mov_b32_e32 v10, v39
	v_add_f32_e32 v6, v46, v6
	v_add_f32_e32 v8, v46, v8
	v_pk_add_f32 v[46:47], v[28:29], v[18:19]
	v_mov_b32_e32 v14, v42
	v_pk_add_f32 v[38:39], v[38:39], v[10:11]
	v_fmac_f32_e32 v14, -0.5, v46
	v_mov_b32_e32 v39, v35
	v_fmamk_f32 v16, v37, 0x3f737871, v14
	v_pk_mul_f32 v[38:39], v[38:39], s[0:1]
	v_fmac_f32_e32 v14, 0xbf737871, v37
	v_pk_add_f32 v[28:29], v[42:43], v[28:29]
	v_add_f32_e32 v14, v39, v14
	v_pk_add_f32 v[12:13], v[28:29], v[12:13]
	v_sub_f32_e32 v10, v16, v39
	v_add_f32_e32 v32, v38, v14
	v_pk_add_f32 v[12:13], v[12:13], v[22:23]
	v_mov_b32_e32 v16, v9
	v_mov_b32_e32 v14, v11
	v_pk_add_f32 v[12:13], v[12:13], v[18:19]
	v_pk_add_f32 v[18:19], v[16:17], v[14:15] neg_lo:[0,1] neg_hi:[0,1]
	v_fma_f32 v23, -0.5, v33, v7
	v_mov_b32_e32 v22, v19
	v_pk_add_f32 v[18:19], v[18:19], v[22:23]
	v_fmamk_f32 v28, v34, 0x3f737871, v23
	v_mov_b32_e32 v19, v36
	v_pk_mul_f32 v[18:19], v[18:19], s[0:1]
	v_pk_add_f32 v[14:15], v[14:15], v[16:17] neg_lo:[0,1] neg_hi:[0,1]
	v_add_f32_e32 v9, v19, v28
	v_fmac_f32_e32 v23, 0xbf737871, v34
	v_mov_b32_e32 v16, v15
	v_add_f32_e32 v22, v18, v9
	v_sub_f32_e32 v9, v23, v19
	v_fmac_f32_e32 v7, -0.5, v47
	v_pk_add_f32 v[14:15], v[14:15], v[16:17]
	v_mov_b32_e32 v0, s2
	s_mov_b32 s2, 0x3f737871
	v_add_f32_e32 v18, v18, v9
	v_fmamk_f32 v9, v36, 0xbf737871, v7
	v_mov_b32_e32 v15, v34
	v_fmac_f32_e32 v7, 0x3f737871, v36
	v_pk_add_f32 v[34:35], v[24:25], v[20:21]
	v_pk_add_f32 v[36:37], v[40:41], v[26:27] neg_lo:[0,1] neg_hi:[0,1]
	v_add_f32_e32 v10, v38, v10
	v_pk_fma_f32 v[34:35], v[34:35], 0.5, v[4:5] op_sel_hi:[1,0,1] neg_lo:[1,0,0] neg_hi:[1,0,0]
	v_pk_mul_f32 v[38:39], v[36:37], s[2:3] op_sel_hi:[1,0]
	v_pk_add_f32 v[42:43], v[24:25], v[20:21] neg_lo:[0,1] neg_hi:[0,1]
	s_mov_b32 s6, s1
	v_pk_add_f32 v[46:47], v[40:41], v[24:25] neg_lo:[0,1] neg_hi:[0,1]
	v_pk_add_f32 v[48:49], v[26:27], v[20:21] neg_lo:[0,1] neg_hi:[0,1]
	s_mov_b32 s8, 0x3f4f1bbd
	v_pk_add_f32 v[30:31], v[4:5], v[40:41]
	v_pk_mul_f32 v[14:15], v[14:15], s[0:1]
	v_pk_mul_f32 v[44:45], v[42:43], s[6:7] op_sel_hi:[1,0]
	v_pk_add_f32 v[46:47], v[46:47], v[48:49]
	v_pk_add_f32 v[48:49], v[34:35], v[38:39] op_sel:[0,1] op_sel_hi:[1,0] neg_lo:[0,1] neg_hi:[0,1]
	v_pk_add_f32 v[34:35], v[34:35], v[38:39] op_sel:[0,1] op_sel_hi:[1,0]
	s_mov_b32 s10, s1
	s_mov_b32 s11, s8
	v_pk_add_f32 v[30:31], v[30:31], v[24:25]
	v_add_f32_e32 v9, v15, v9
	v_sub_f32_e32 v7, v7, v15
	v_pk_add_f32 v[34:35], v[34:35], v[44:45] op_sel:[0,1] op_sel_hi:[1,0]
	v_pk_add_f32 v[38:39], v[48:49], v[44:45] op_sel:[0,1] op_sel_hi:[1,0] neg_lo:[0,1] neg_hi:[0,1]
	s_mov_b32 s9, s1
	v_pk_mul_f32 v[22:23], v[22:23], s[10:11] op_sel_hi:[0,1]
	v_pk_add_f32 v[30:31], v[30:31], v[20:21]
	v_add_f32_e32 v16, v14, v9
	v_add_f32_e32 v14, v14, v7
	v_mov_b32_e32 v44, v38
	v_mov_b32_e32 v45, v35
	v_pk_fma_f32 v[48:49], v[6:7], s[8:9], v[22:23] neg_lo:[0,0,1] neg_hi:[0,0,1]
	v_pk_fma_f32 v[6:7], v[6:7], s[8:9], v[22:23] op_sel_hi:[0,1,1]
	v_pk_add_f32 v[30:31], v[30:31], v[26:27]
	v_pk_fma_f32 v[44:45], v[46:47], s[0:1], v[44:45] op_sel_hi:[1,0,1]
	v_mov_b32_e32 v49, v7
	v_pk_add_f32 v[28:29], v[30:31], v[12:13]
	v_pk_add_f32 v[6:7], v[44:45], v[48:49]
	v_mov_b32_e32 v1, s3
	ds_write2_b64 v62, v[28:29], v[6:7] offset1:60
	v_pk_add_f32 v[6:7], v[40:41], v[26:27]
	s_mov_b32 s3, s0
	v_pk_fma_f32 v[4:5], v[6:7], 0.5, v[4:5] op_sel_hi:[1,0,1] neg_lo:[1,0,0] neg_hi:[1,0,0]
	v_pk_add_f32 v[6:7], v[24:25], v[40:41] neg_lo:[0,1] neg_hi:[0,1]
	v_pk_add_f32 v[20:21], v[20:21], v[26:27] neg_lo:[0,1] neg_hi:[0,1]
	s_mov_b32 s8, s0
	s_mov_b32 s9, s2
	v_pk_mul_f32 v[16:17], v[16:17], s[2:3] op_sel_hi:[0,1]
	v_pk_add_f32 v[6:7], v[6:7], v[20:21]
	v_pk_fma_f32 v[20:21], v[10:11], s[8:9], v[16:17] neg_lo:[0,0,1] neg_hi:[0,0,1]
	v_pk_fma_f32 v[10:11], v[10:11], s[8:9], v[16:17] op_sel_hi:[0,1,1]
	v_mov_b32_e32 v21, v11
	v_pk_mul_f32 v[10:11], v[42:43], s[2:3] op_sel_hi:[1,0]
	v_pk_mul_f32 v[16:17], v[36:37], s[6:7] op_sel_hi:[1,0]
	v_pk_add_f32 v[22:23], v[4:5], v[10:11] op_sel:[0,1] op_sel_hi:[1,0]
	v_pk_add_f32 v[4:5], v[4:5], v[10:11] op_sel:[0,1] op_sel_hi:[1,0] neg_lo:[0,1] neg_hi:[0,1]
	v_pk_add_f32 v[10:11], v[22:23], v[16:17] op_sel:[0,1] op_sel_hi:[1,0] neg_lo:[0,1] neg_hi:[0,1]
	v_pk_add_f32 v[4:5], v[4:5], v[16:17] op_sel:[0,1] op_sel_hi:[1,0]
	v_mov_b32_e32 v16, v10
	v_mov_b32_e32 v17, v5
	s_mov_b32 s8, 0xbe9e377a
	v_pk_mul_f32 v[14:15], v[14:15], s[2:3] op_sel_hi:[0,1]
	v_mov_b32_e32 v5, v11
	v_pk_fma_f32 v[16:17], v[6:7], s[0:1], v[16:17] op_sel_hi:[1,0,1]
	v_pk_fma_f32 v[14:15], v[32:33], s[8:9], v[14:15] op_sel_hi:[0,1,1] neg_lo:[0,0,1] neg_hi:[0,0,1]
	v_pk_fma_f32 v[4:5], v[6:7], s[0:1], v[4:5] op_sel_hi:[1,0,1]
	v_pk_add_f32 v[22:23], v[16:17], v[20:21]
	v_pk_add_f32 v[6:7], v[4:5], v[14:15]
	ds_write2_b64 v62, v[22:23], v[6:7] offset0:120 offset1:180
	s_mov_b32 s2, 0xbf4f1bbd
	s_mov_b32 s3, s1
	v_pk_mul_f32 v[6:7], v[18:19], s[10:11] op_sel_hi:[0,1]
	v_mov_b32_e32 v35, v39
	v_pk_fma_f32 v[6:7], v[8:9], s[2:3], v[6:7] op_sel_hi:[0,1,1] neg_lo:[0,0,1] neg_hi:[0,0,1]
	v_pk_fma_f32 v[8:9], v[46:47], s[0:1], v[34:35] op_sel_hi:[1,0,1]
	v_pk_add_f32 v[12:13], v[30:31], v[12:13] neg_lo:[0,1] neg_hi:[0,1]
	v_pk_add_f32 v[10:11], v[8:9], v[6:7]
	ds_write2_b64 v50, v[10:11], v[12:13] offset0:112 offset1:172
	v_pk_add_f32 v[10:11], v[44:45], v[48:49] neg_lo:[0,1] neg_hi:[0,1]
	v_pk_add_f32 v[12:13], v[16:17], v[20:21] neg_lo:[0,1] neg_hi:[0,1]
	;; [unrolled: 1-line block ×4, first 2 shown]
	ds_write2_b64 v51, v[10:11], v[12:13] offset0:104 offset1:164
	ds_write2_b64 v52, v[4:5], v[6:7] offset0:96 offset1:156
	s_waitcnt lgkmcnt(0)
	; wave barrier
	s_waitcnt lgkmcnt(0)
	ds_read2_b64 v[4:7], v62 offset1:60
	v_mov_b32_e32 v8, v3
	v_mad_u64_u32 v[8:9], s[0:1], s7, v64, v[8:9]
	v_mov_b32_e32 v3, v8
	s_waitcnt lgkmcnt(0)
	v_mul_f32_e32 v8, v79, v5
	v_fmac_f32_e32 v8, v78, v4
	v_mul_f32_e32 v4, v79, v4
	s_mov_b32 s0, 0xb4e81b4f
	v_fma_f32 v4, v78, v5, -v4
	v_cvt_f64_f32_e32 v[8:9], v8
	s_mov_b32 s1, 0x3f5b4e81
	v_cvt_f64_f32_e32 v[4:5], v4
	v_mul_f64 v[8:9], v[8:9], s[0:1]
	v_mul_f64 v[4:5], v[4:5], s[0:1]
	v_cvt_f32_f64_e32 v8, v[8:9]
	v_cvt_f32_f64_e32 v9, v[4:5]
	v_mad_u64_u32 v[4:5], s[2:3], s4, v114, 0
	v_mov_b32_e32 v10, v5
	v_mad_u64_u32 v[10:11], s[2:3], s5, v114, v[10:11]
	v_mov_b32_e32 v5, v10
	v_lshl_add_u64 v[0:1], v[2:3], 3, v[0:1]
	v_lshl_add_u64 v[4:5], v[4:5], 3, v[0:1]
	v_mul_f32_e32 v0, v77, v7
	v_fmac_f32_e32 v0, v76, v6
	v_cvt_f64_f32_e32 v[0:1], v0
	v_mul_f64 v[0:1], v[0:1], s[0:1]
	global_store_dwordx2 v[4:5], v[8:9], off
	v_cvt_f32_f64_e32 v8, v[0:1]
	v_mul_f32_e32 v0, v77, v6
	v_fma_f32 v0, v76, v7, -v0
	v_cvt_f64_f32_e32 v[0:1], v0
	v_mul_f64 v[0:1], v[0:1], s[0:1]
	v_cvt_f32_f64_e32 v9, v[0:1]
	ds_read2_b64 v[0:3], v62 offset0:120 offset1:180
	v_mov_b32_e32 v10, 0x1e0
	v_mad_u64_u32 v[4:5], s[2:3], s4, v10, v[4:5]
	s_mulk_i32 s5, 0x1e0
	s_waitcnt lgkmcnt(0)
	v_mul_f32_e32 v6, v71, v1
	v_fmac_f32_e32 v6, v70, v0
	v_mul_f32_e32 v0, v71, v0
	v_fma_f32 v0, v70, v1, -v0
	v_cvt_f64_f32_e32 v[6:7], v6
	v_cvt_f64_f32_e32 v[0:1], v0
	v_mul_f64 v[6:7], v[6:7], s[0:1]
	v_mul_f64 v[0:1], v[0:1], s[0:1]
	v_cvt_f32_f64_e32 v6, v[6:7]
	v_cvt_f32_f64_e32 v7, v[0:1]
	v_mul_f32_e32 v0, v69, v3
	v_add_u32_e32 v5, s5, v5
	v_fmac_f32_e32 v0, v68, v2
	global_store_dwordx2 v[4:5], v[8:9], off
	v_mad_u64_u32 v[4:5], s[2:3], s4, v10, v[4:5]
	v_cvt_f64_f32_e32 v[0:1], v0
	v_add_u32_e32 v5, s5, v5
	v_mul_f64 v[0:1], v[0:1], s[0:1]
	global_store_dwordx2 v[4:5], v[6:7], off
	v_cvt_f32_f64_e32 v6, v[0:1]
	v_mul_f32_e32 v0, v69, v2
	v_fma_f32 v0, v68, v3, -v0
	v_cvt_f64_f32_e32 v[0:1], v0
	v_mul_f64 v[0:1], v[0:1], s[0:1]
	v_cvt_f32_f64_e32 v7, v[0:1]
	ds_read2_b64 v[0:3], v50 offset0:112 offset1:172
	v_mad_u64_u32 v[4:5], s[2:3], s4, v10, v[4:5]
	v_add_u32_e32 v5, s5, v5
	global_store_dwordx2 v[4:5], v[6:7], off
	s_waitcnt lgkmcnt(0)
	v_mul_f32_e32 v6, v75, v1
	v_fmac_f32_e32 v6, v74, v0
	v_mul_f32_e32 v0, v75, v0
	v_fma_f32 v0, v74, v1, -v0
	v_cvt_f64_f32_e32 v[6:7], v6
	v_cvt_f64_f32_e32 v[0:1], v0
	v_mul_f64 v[6:7], v[6:7], s[0:1]
	v_mul_f64 v[0:1], v[0:1], s[0:1]
	v_cvt_f32_f64_e32 v6, v[6:7]
	v_cvt_f32_f64_e32 v7, v[0:1]
	v_mul_f32_e32 v0, v73, v3
	v_fmac_f32_e32 v0, v72, v2
	v_mad_u64_u32 v[4:5], s[2:3], s4, v10, v[4:5]
	v_cvt_f64_f32_e32 v[0:1], v0
	v_add_u32_e32 v5, s5, v5
	v_mul_f64 v[0:1], v[0:1], s[0:1]
	global_store_dwordx2 v[4:5], v[6:7], off
	v_cvt_f32_f64_e32 v6, v[0:1]
	v_mul_f32_e32 v0, v73, v2
	v_fma_f32 v0, v72, v3, -v0
	v_cvt_f64_f32_e32 v[0:1], v0
	v_mul_f64 v[0:1], v[0:1], s[0:1]
	v_cvt_f32_f64_e32 v7, v[0:1]
	ds_read2_b64 v[0:3], v51 offset0:104 offset1:164
	v_mad_u64_u32 v[4:5], s[2:3], s4, v10, v[4:5]
	v_add_u32_e32 v5, s5, v5
	global_store_dwordx2 v[4:5], v[6:7], off
	s_waitcnt lgkmcnt(0)
	v_mul_f32_e32 v6, v67, v1
	v_fmac_f32_e32 v6, v66, v0
	v_mul_f32_e32 v0, v67, v0
	v_fma_f32 v0, v66, v1, -v0
	v_cvt_f64_f32_e32 v[6:7], v6
	v_cvt_f64_f32_e32 v[0:1], v0
	v_mul_f64 v[6:7], v[6:7], s[0:1]
	v_mul_f64 v[0:1], v[0:1], s[0:1]
	v_cvt_f32_f64_e32 v6, v[6:7]
	v_cvt_f32_f64_e32 v7, v[0:1]
	v_mul_f32_e32 v0, v61, v3
	v_fmac_f32_e32 v0, v60, v2
	v_mad_u64_u32 v[4:5], s[2:3], s4, v10, v[4:5]
	v_cvt_f64_f32_e32 v[0:1], v0
	v_add_u32_e32 v5, s5, v5
	v_mul_f64 v[0:1], v[0:1], s[0:1]
	global_store_dwordx2 v[4:5], v[6:7], off
	v_cvt_f32_f64_e32 v6, v[0:1]
	v_mul_f32_e32 v0, v61, v2
	v_fma_f32 v0, v60, v3, -v0
	v_cvt_f64_f32_e32 v[0:1], v0
	v_mul_f64 v[0:1], v[0:1], s[0:1]
	v_cvt_f32_f64_e32 v7, v[0:1]
	ds_read2_b64 v[0:3], v52 offset0:96 offset1:156
	v_mad_u64_u32 v[4:5], s[2:3], s4, v10, v[4:5]
	v_add_u32_e32 v5, s5, v5
	global_store_dwordx2 v[4:5], v[6:7], off
	s_waitcnt lgkmcnt(0)
	v_mul_f32_e32 v6, v57, v1
	v_fmac_f32_e32 v6, v56, v0
	v_mul_f32_e32 v0, v57, v0
	v_fma_f32 v0, v56, v1, -v0
	v_cvt_f64_f32_e32 v[6:7], v6
	v_cvt_f64_f32_e32 v[0:1], v0
	v_mul_f64 v[6:7], v[6:7], s[0:1]
	v_mul_f64 v[0:1], v[0:1], s[0:1]
	v_cvt_f32_f64_e32 v6, v[6:7]
	v_cvt_f32_f64_e32 v7, v[0:1]
	v_mad_u64_u32 v[0:1], s[2:3], s4, v10, v[4:5]
	v_mul_f32_e32 v4, v59, v3
	v_fmac_f32_e32 v4, v58, v2
	v_mul_f32_e32 v2, v59, v2
	v_fma_f32 v2, v58, v3, -v2
	v_add_u32_e32 v1, s5, v1
	v_cvt_f64_f32_e32 v[4:5], v4
	v_cvt_f64_f32_e32 v[2:3], v2
	global_store_dwordx2 v[0:1], v[6:7], off
	v_mul_f64 v[4:5], v[4:5], s[0:1]
	v_mul_f64 v[2:3], v[2:3], s[0:1]
	v_mad_u64_u32 v[0:1], s[0:1], s4, v10, v[0:1]
	v_cvt_f32_f64_e32 v4, v[4:5]
	v_cvt_f32_f64_e32 v5, v[2:3]
	v_add_u32_e32 v1, s5, v1
	global_store_dwordx2 v[0:1], v[4:5], off
.LBB0_10:
	s_endpgm
	.section	.rodata,"a",@progbits
	.p2align	6, 0x0
	.amdhsa_kernel bluestein_single_fwd_len600_dim1_sp_op_CI_CI
		.amdhsa_group_segment_fixed_size 4800
		.amdhsa_private_segment_fixed_size 0
		.amdhsa_kernarg_size 104
		.amdhsa_user_sgpr_count 2
		.amdhsa_user_sgpr_dispatch_ptr 0
		.amdhsa_user_sgpr_queue_ptr 0
		.amdhsa_user_sgpr_kernarg_segment_ptr 1
		.amdhsa_user_sgpr_dispatch_id 0
		.amdhsa_user_sgpr_kernarg_preload_length 0
		.amdhsa_user_sgpr_kernarg_preload_offset 0
		.amdhsa_user_sgpr_private_segment_size 0
		.amdhsa_uses_dynamic_stack 0
		.amdhsa_enable_private_segment 0
		.amdhsa_system_sgpr_workgroup_id_x 1
		.amdhsa_system_sgpr_workgroup_id_y 0
		.amdhsa_system_sgpr_workgroup_id_z 0
		.amdhsa_system_sgpr_workgroup_info 0
		.amdhsa_system_vgpr_workitem_id 0
		.amdhsa_next_free_vgpr 142
		.amdhsa_next_free_sgpr 18
		.amdhsa_accum_offset 144
		.amdhsa_reserve_vcc 1
		.amdhsa_float_round_mode_32 0
		.amdhsa_float_round_mode_16_64 0
		.amdhsa_float_denorm_mode_32 3
		.amdhsa_float_denorm_mode_16_64 3
		.amdhsa_dx10_clamp 1
		.amdhsa_ieee_mode 1
		.amdhsa_fp16_overflow 0
		.amdhsa_tg_split 0
		.amdhsa_exception_fp_ieee_invalid_op 0
		.amdhsa_exception_fp_denorm_src 0
		.amdhsa_exception_fp_ieee_div_zero 0
		.amdhsa_exception_fp_ieee_overflow 0
		.amdhsa_exception_fp_ieee_underflow 0
		.amdhsa_exception_fp_ieee_inexact 0
		.amdhsa_exception_int_div_zero 0
	.end_amdhsa_kernel
	.text
.Lfunc_end0:
	.size	bluestein_single_fwd_len600_dim1_sp_op_CI_CI, .Lfunc_end0-bluestein_single_fwd_len600_dim1_sp_op_CI_CI
                                        ; -- End function
	.section	.AMDGPU.csdata,"",@progbits
; Kernel info:
; codeLenInByte = 8864
; NumSgprs: 24
; NumVgprs: 142
; NumAgprs: 0
; TotalNumVgprs: 142
; ScratchSize: 0
; MemoryBound: 0
; FloatMode: 240
; IeeeMode: 1
; LDSByteSize: 4800 bytes/workgroup (compile time only)
; SGPRBlocks: 2
; VGPRBlocks: 17
; NumSGPRsForWavesPerEU: 24
; NumVGPRsForWavesPerEU: 142
; AccumOffset: 144
; Occupancy: 3
; WaveLimiterHint : 1
; COMPUTE_PGM_RSRC2:SCRATCH_EN: 0
; COMPUTE_PGM_RSRC2:USER_SGPR: 2
; COMPUTE_PGM_RSRC2:TRAP_HANDLER: 0
; COMPUTE_PGM_RSRC2:TGID_X_EN: 1
; COMPUTE_PGM_RSRC2:TGID_Y_EN: 0
; COMPUTE_PGM_RSRC2:TGID_Z_EN: 0
; COMPUTE_PGM_RSRC2:TIDIG_COMP_CNT: 0
; COMPUTE_PGM_RSRC3_GFX90A:ACCUM_OFFSET: 35
; COMPUTE_PGM_RSRC3_GFX90A:TG_SPLIT: 0
	.text
	.p2alignl 6, 3212836864
	.fill 256, 4, 3212836864
	.type	__hip_cuid_468c6a65c106e0d5,@object ; @__hip_cuid_468c6a65c106e0d5
	.section	.bss,"aw",@nobits
	.globl	__hip_cuid_468c6a65c106e0d5
__hip_cuid_468c6a65c106e0d5:
	.byte	0                               ; 0x0
	.size	__hip_cuid_468c6a65c106e0d5, 1

	.ident	"AMD clang version 19.0.0git (https://github.com/RadeonOpenCompute/llvm-project roc-6.4.0 25133 c7fe45cf4b819c5991fe208aaa96edf142730f1d)"
	.section	".note.GNU-stack","",@progbits
	.addrsig
	.addrsig_sym __hip_cuid_468c6a65c106e0d5
	.amdgpu_metadata
---
amdhsa.kernels:
  - .agpr_count:     0
    .args:
      - .actual_access:  read_only
        .address_space:  global
        .offset:         0
        .size:           8
        .value_kind:     global_buffer
      - .actual_access:  read_only
        .address_space:  global
        .offset:         8
        .size:           8
        .value_kind:     global_buffer
      - .actual_access:  read_only
        .address_space:  global
        .offset:         16
        .size:           8
        .value_kind:     global_buffer
      - .actual_access:  read_only
        .address_space:  global
        .offset:         24
        .size:           8
        .value_kind:     global_buffer
      - .actual_access:  read_only
        .address_space:  global
        .offset:         32
        .size:           8
        .value_kind:     global_buffer
      - .offset:         40
        .size:           8
        .value_kind:     by_value
      - .address_space:  global
        .offset:         48
        .size:           8
        .value_kind:     global_buffer
      - .address_space:  global
        .offset:         56
        .size:           8
        .value_kind:     global_buffer
      - .address_space:  global
        .offset:         64
        .size:           8
        .value_kind:     global_buffer
      - .address_space:  global
        .offset:         72
        .size:           8
        .value_kind:     global_buffer
      - .offset:         80
        .size:           4
        .value_kind:     by_value
      - .address_space:  global
        .offset:         88
        .size:           8
        .value_kind:     global_buffer
      - .address_space:  global
        .offset:         96
        .size:           8
        .value_kind:     global_buffer
    .group_segment_fixed_size: 4800
    .kernarg_segment_align: 8
    .kernarg_segment_size: 104
    .language:       OpenCL C
    .language_version:
      - 2
      - 0
    .max_flat_workgroup_size: 60
    .name:           bluestein_single_fwd_len600_dim1_sp_op_CI_CI
    .private_segment_fixed_size: 0
    .sgpr_count:     24
    .sgpr_spill_count: 0
    .symbol:         bluestein_single_fwd_len600_dim1_sp_op_CI_CI.kd
    .uniform_work_group_size: 1
    .uses_dynamic_stack: false
    .vgpr_count:     142
    .vgpr_spill_count: 0
    .wavefront_size: 64
amdhsa.target:   amdgcn-amd-amdhsa--gfx950
amdhsa.version:
  - 1
  - 2
...

	.end_amdgpu_metadata
